;; amdgpu-corpus repo=ROCm/rocFFT kind=compiled arch=gfx1201 opt=O3
	.text
	.amdgcn_target "amdgcn-amd-amdhsa--gfx1201"
	.amdhsa_code_object_version 6
	.protected	fft_rtc_fwd_len3645_factors_5_3_3_3_3_3_3_wgs_243_tpt_243_halfLds_sp_op_CI_CI_sbrr_dirReg ; -- Begin function fft_rtc_fwd_len3645_factors_5_3_3_3_3_3_3_wgs_243_tpt_243_halfLds_sp_op_CI_CI_sbrr_dirReg
	.globl	fft_rtc_fwd_len3645_factors_5_3_3_3_3_3_3_wgs_243_tpt_243_halfLds_sp_op_CI_CI_sbrr_dirReg
	.p2align	8
	.type	fft_rtc_fwd_len3645_factors_5_3_3_3_3_3_3_wgs_243_tpt_243_halfLds_sp_op_CI_CI_sbrr_dirReg,@function
fft_rtc_fwd_len3645_factors_5_3_3_3_3_3_3_wgs_243_tpt_243_halfLds_sp_op_CI_CI_sbrr_dirReg: ; @fft_rtc_fwd_len3645_factors_5_3_3_3_3_3_3_wgs_243_tpt_243_halfLds_sp_op_CI_CI_sbrr_dirReg
; %bb.0:
	s_clause 0x2
	s_load_b128 s[12:15], s[0:1], 0x18
	s_load_b128 s[8:11], s[0:1], 0x0
	;; [unrolled: 1-line block ×3, first 2 shown]
	v_mul_u32_u24_e32 v1, 0x10e, v0
	v_mov_b32_e32 v18, 0
	v_mov_b32_e32 v19, 0
	s_wait_kmcnt 0x0
	s_load_b64 s[18:19], s[12:13], 0x0
	s_load_b64 s[16:17], s[14:15], 0x0
	v_lshrrev_b32_e32 v2, 16, v1
	v_mov_b32_e32 v1, 0
	v_cmp_lt_u64_e64 s2, s[10:11], 2
	s_delay_alu instid0(VALU_DEP_2) | instskip(NEXT) | instid1(VALU_DEP_2)
	v_dual_mov_b32 v9, v1 :: v_dual_add_nc_u32 v8, ttmp9, v2
	s_and_b32 vcc_lo, exec_lo, s2
	s_cbranch_vccnz .LBB0_8
; %bb.1:
	s_load_b64 s[2:3], s[0:1], 0x10
	v_mov_b32_e32 v18, 0
	v_mov_b32_e32 v19, 0
	s_delay_alu instid0(VALU_DEP_2)
	v_mov_b32_e32 v4, v18
	s_add_nc_u64 s[20:21], s[14:15], 8
	s_add_nc_u64 s[22:23], s[12:13], 8
	s_mov_b64 s[24:25], 1
	v_mov_b32_e32 v5, v19
	s_wait_kmcnt 0x0
	s_add_nc_u64 s[26:27], s[2:3], 8
	s_mov_b32 s3, 0
.LBB0_2:                                ; =>This Inner Loop Header: Depth=1
	s_load_b64 s[28:29], s[26:27], 0x0
                                        ; implicit-def: $vgpr6_vgpr7
	s_mov_b32 s2, exec_lo
	s_wait_kmcnt 0x0
	v_or_b32_e32 v2, s29, v9
	s_delay_alu instid0(VALU_DEP_1)
	v_cmpx_ne_u64_e32 0, v[1:2]
	s_wait_alu 0xfffe
	s_xor_b32 s30, exec_lo, s2
	s_cbranch_execz .LBB0_4
; %bb.3:                                ;   in Loop: Header=BB0_2 Depth=1
	s_cvt_f32_u32 s2, s28
	s_cvt_f32_u32 s31, s29
	s_sub_nc_u64 s[36:37], 0, s[28:29]
	s_wait_alu 0xfffe
	s_delay_alu instid0(SALU_CYCLE_1) | instskip(SKIP_1) | instid1(SALU_CYCLE_2)
	s_fmamk_f32 s2, s31, 0x4f800000, s2
	s_wait_alu 0xfffe
	v_s_rcp_f32 s2, s2
	s_delay_alu instid0(TRANS32_DEP_1) | instskip(SKIP_1) | instid1(SALU_CYCLE_2)
	s_mul_f32 s2, s2, 0x5f7ffffc
	s_wait_alu 0xfffe
	s_mul_f32 s31, s2, 0x2f800000
	s_wait_alu 0xfffe
	s_delay_alu instid0(SALU_CYCLE_2) | instskip(SKIP_1) | instid1(SALU_CYCLE_2)
	s_trunc_f32 s31, s31
	s_wait_alu 0xfffe
	s_fmamk_f32 s2, s31, 0xcf800000, s2
	s_cvt_u32_f32 s35, s31
	s_wait_alu 0xfffe
	s_delay_alu instid0(SALU_CYCLE_1) | instskip(SKIP_1) | instid1(SALU_CYCLE_2)
	s_cvt_u32_f32 s34, s2
	s_wait_alu 0xfffe
	s_mul_u64 s[38:39], s[36:37], s[34:35]
	s_wait_alu 0xfffe
	s_mul_hi_u32 s41, s34, s39
	s_mul_i32 s40, s34, s39
	s_mul_hi_u32 s2, s34, s38
	s_mul_i32 s33, s35, s38
	s_wait_alu 0xfffe
	s_add_nc_u64 s[40:41], s[2:3], s[40:41]
	s_mul_hi_u32 s31, s35, s38
	s_mul_hi_u32 s42, s35, s39
	s_add_co_u32 s2, s40, s33
	s_wait_alu 0xfffe
	s_add_co_ci_u32 s2, s41, s31
	s_mul_i32 s38, s35, s39
	s_add_co_ci_u32 s39, s42, 0
	s_wait_alu 0xfffe
	s_add_nc_u64 s[38:39], s[2:3], s[38:39]
	s_wait_alu 0xfffe
	v_add_co_u32 v2, s2, s34, s38
	s_delay_alu instid0(VALU_DEP_1) | instskip(SKIP_1) | instid1(VALU_DEP_1)
	s_cmp_lg_u32 s2, 0
	s_add_co_ci_u32 s35, s35, s39
	v_readfirstlane_b32 s34, v2
	s_wait_alu 0xfffe
	s_delay_alu instid0(VALU_DEP_1)
	s_mul_u64 s[36:37], s[36:37], s[34:35]
	s_wait_alu 0xfffe
	s_mul_hi_u32 s39, s34, s37
	s_mul_i32 s38, s34, s37
	s_mul_hi_u32 s2, s34, s36
	s_mul_i32 s33, s35, s36
	s_wait_alu 0xfffe
	s_add_nc_u64 s[38:39], s[2:3], s[38:39]
	s_mul_hi_u32 s31, s35, s36
	s_mul_hi_u32 s34, s35, s37
	s_wait_alu 0xfffe
	s_add_co_u32 s2, s38, s33
	s_add_co_ci_u32 s2, s39, s31
	s_mul_i32 s36, s35, s37
	s_add_co_ci_u32 s37, s34, 0
	s_wait_alu 0xfffe
	s_add_nc_u64 s[36:37], s[2:3], s[36:37]
	s_wait_alu 0xfffe
	v_add_co_u32 v6, s2, v2, s36
	s_delay_alu instid0(VALU_DEP_1) | instskip(SKIP_1) | instid1(VALU_DEP_1)
	s_cmp_lg_u32 s2, 0
	s_add_co_ci_u32 s2, s35, s37
	v_mul_hi_u32 v12, v8, v6
	s_wait_alu 0xfffe
	v_mad_co_u64_u32 v[2:3], null, v8, s2, 0
	v_mad_co_u64_u32 v[6:7], null, v9, v6, 0
	;; [unrolled: 1-line block ×3, first 2 shown]
	s_delay_alu instid0(VALU_DEP_3) | instskip(SKIP_1) | instid1(VALU_DEP_4)
	v_add_co_u32 v2, vcc_lo, v12, v2
	s_wait_alu 0xfffd
	v_add_co_ci_u32_e32 v3, vcc_lo, 0, v3, vcc_lo
	s_delay_alu instid0(VALU_DEP_2) | instskip(SKIP_1) | instid1(VALU_DEP_2)
	v_add_co_u32 v2, vcc_lo, v2, v6
	s_wait_alu 0xfffd
	v_add_co_ci_u32_e32 v2, vcc_lo, v3, v7, vcc_lo
	s_wait_alu 0xfffd
	v_add_co_ci_u32_e32 v3, vcc_lo, 0, v11, vcc_lo
	s_delay_alu instid0(VALU_DEP_2) | instskip(SKIP_1) | instid1(VALU_DEP_2)
	v_add_co_u32 v6, vcc_lo, v2, v10
	s_wait_alu 0xfffd
	v_add_co_ci_u32_e32 v7, vcc_lo, 0, v3, vcc_lo
	s_delay_alu instid0(VALU_DEP_2) | instskip(SKIP_1) | instid1(VALU_DEP_3)
	v_mul_lo_u32 v10, s29, v6
	v_mad_co_u64_u32 v[2:3], null, s28, v6, 0
	v_mul_lo_u32 v11, s28, v7
	s_delay_alu instid0(VALU_DEP_2) | instskip(NEXT) | instid1(VALU_DEP_2)
	v_sub_co_u32 v2, vcc_lo, v8, v2
	v_add3_u32 v3, v3, v11, v10
	s_delay_alu instid0(VALU_DEP_1) | instskip(SKIP_1) | instid1(VALU_DEP_1)
	v_sub_nc_u32_e32 v10, v9, v3
	s_wait_alu 0xfffd
	v_subrev_co_ci_u32_e64 v10, s2, s29, v10, vcc_lo
	v_add_co_u32 v11, s2, v6, 2
	s_wait_alu 0xf1ff
	v_add_co_ci_u32_e64 v12, s2, 0, v7, s2
	v_sub_co_u32 v13, s2, v2, s28
	v_sub_co_ci_u32_e32 v3, vcc_lo, v9, v3, vcc_lo
	s_wait_alu 0xf1ff
	v_subrev_co_ci_u32_e64 v10, s2, 0, v10, s2
	s_delay_alu instid0(VALU_DEP_3) | instskip(NEXT) | instid1(VALU_DEP_3)
	v_cmp_le_u32_e32 vcc_lo, s28, v13
	v_cmp_eq_u32_e64 s2, s29, v3
	s_wait_alu 0xfffd
	v_cndmask_b32_e64 v13, 0, -1, vcc_lo
	v_cmp_le_u32_e32 vcc_lo, s29, v10
	s_wait_alu 0xfffd
	v_cndmask_b32_e64 v14, 0, -1, vcc_lo
	v_cmp_le_u32_e32 vcc_lo, s28, v2
	;; [unrolled: 3-line block ×3, first 2 shown]
	s_wait_alu 0xfffd
	v_cndmask_b32_e64 v15, 0, -1, vcc_lo
	v_cmp_eq_u32_e32 vcc_lo, s29, v10
	s_wait_alu 0xf1ff
	s_delay_alu instid0(VALU_DEP_2)
	v_cndmask_b32_e64 v2, v15, v2, s2
	s_wait_alu 0xfffd
	v_cndmask_b32_e32 v10, v14, v13, vcc_lo
	v_add_co_u32 v13, vcc_lo, v6, 1
	s_wait_alu 0xfffd
	v_add_co_ci_u32_e32 v14, vcc_lo, 0, v7, vcc_lo
	s_delay_alu instid0(VALU_DEP_3) | instskip(SKIP_1) | instid1(VALU_DEP_2)
	v_cmp_ne_u32_e32 vcc_lo, 0, v10
	s_wait_alu 0xfffd
	v_dual_cndmask_b32 v3, v14, v12 :: v_dual_cndmask_b32 v10, v13, v11
	v_cmp_ne_u32_e32 vcc_lo, 0, v2
	s_wait_alu 0xfffd
	s_delay_alu instid0(VALU_DEP_2)
	v_dual_cndmask_b32 v7, v7, v3 :: v_dual_cndmask_b32 v6, v6, v10
.LBB0_4:                                ;   in Loop: Header=BB0_2 Depth=1
	s_wait_alu 0xfffe
	s_and_not1_saveexec_b32 s2, s30
	s_cbranch_execz .LBB0_6
; %bb.5:                                ;   in Loop: Header=BB0_2 Depth=1
	v_cvt_f32_u32_e32 v2, s28
	s_sub_co_i32 s30, 0, s28
	s_delay_alu instid0(VALU_DEP_1) | instskip(NEXT) | instid1(TRANS32_DEP_1)
	v_rcp_iflag_f32_e32 v2, v2
	v_mul_f32_e32 v2, 0x4f7ffffe, v2
	s_delay_alu instid0(VALU_DEP_1) | instskip(SKIP_1) | instid1(VALU_DEP_1)
	v_cvt_u32_f32_e32 v2, v2
	s_wait_alu 0xfffe
	v_mul_lo_u32 v3, s30, v2
	s_delay_alu instid0(VALU_DEP_1) | instskip(NEXT) | instid1(VALU_DEP_1)
	v_mul_hi_u32 v3, v2, v3
	v_add_nc_u32_e32 v2, v2, v3
	s_delay_alu instid0(VALU_DEP_1) | instskip(NEXT) | instid1(VALU_DEP_1)
	v_mul_hi_u32 v2, v8, v2
	v_mul_lo_u32 v3, v2, s28
	v_add_nc_u32_e32 v6, 1, v2
	s_delay_alu instid0(VALU_DEP_2) | instskip(NEXT) | instid1(VALU_DEP_1)
	v_sub_nc_u32_e32 v3, v8, v3
	v_subrev_nc_u32_e32 v7, s28, v3
	v_cmp_le_u32_e32 vcc_lo, s28, v3
	s_wait_alu 0xfffd
	s_delay_alu instid0(VALU_DEP_2) | instskip(SKIP_1) | instid1(VALU_DEP_2)
	v_cndmask_b32_e32 v3, v3, v7, vcc_lo
	v_dual_mov_b32 v7, v1 :: v_dual_cndmask_b32 v2, v2, v6
	v_cmp_le_u32_e32 vcc_lo, s28, v3
	s_delay_alu instid0(VALU_DEP_2) | instskip(SKIP_1) | instid1(VALU_DEP_1)
	v_add_nc_u32_e32 v6, 1, v2
	s_wait_alu 0xfffd
	v_cndmask_b32_e32 v6, v2, v6, vcc_lo
.LBB0_6:                                ;   in Loop: Header=BB0_2 Depth=1
	s_wait_alu 0xfffe
	s_or_b32 exec_lo, exec_lo, s2
	v_mul_lo_u32 v10, v7, s28
	s_delay_alu instid0(VALU_DEP_2)
	v_mul_lo_u32 v11, v6, s29
	s_load_b64 s[30:31], s[22:23], 0x0
	v_mad_co_u64_u32 v[2:3], null, v6, s28, 0
	s_load_b64 s[28:29], s[20:21], 0x0
	s_add_nc_u64 s[24:25], s[24:25], 1
	s_add_nc_u64 s[20:21], s[20:21], 8
	s_wait_alu 0xfffe
	v_cmp_ge_u64_e64 s2, s[24:25], s[10:11]
	s_add_nc_u64 s[22:23], s[22:23], 8
	s_add_nc_u64 s[26:27], s[26:27], 8
	v_add3_u32 v3, v3, v11, v10
	v_sub_co_u32 v2, vcc_lo, v8, v2
	s_wait_alu 0xfffd
	s_delay_alu instid0(VALU_DEP_2) | instskip(SKIP_2) | instid1(VALU_DEP_1)
	v_sub_co_ci_u32_e32 v3, vcc_lo, v9, v3, vcc_lo
	s_and_b32 vcc_lo, exec_lo, s2
	s_wait_kmcnt 0x0
	v_mul_lo_u32 v8, s30, v3
	v_mul_lo_u32 v9, s31, v2
	v_mad_co_u64_u32 v[18:19], null, s30, v2, v[18:19]
	v_mul_lo_u32 v3, s28, v3
	v_mul_lo_u32 v10, s29, v2
	v_mad_co_u64_u32 v[4:5], null, s28, v2, v[4:5]
	s_delay_alu instid0(VALU_DEP_4) | instskip(NEXT) | instid1(VALU_DEP_2)
	v_add3_u32 v19, v9, v19, v8
	v_add3_u32 v5, v10, v5, v3
	s_wait_alu 0xfffe
	s_cbranch_vccnz .LBB0_9
; %bb.7:                                ;   in Loop: Header=BB0_2 Depth=1
	v_dual_mov_b32 v9, v7 :: v_dual_mov_b32 v8, v6
	s_branch .LBB0_2
.LBB0_8:
	v_dual_mov_b32 v4, v18 :: v_dual_mov_b32 v5, v19
	s_delay_alu instid0(VALU_DEP_2)
	v_dual_mov_b32 v6, v8 :: v_dual_mov_b32 v7, v9
.LBB0_9:
	s_load_b64 s[0:1], s[0:1], 0x28
	v_mul_hi_u32 v2, 0x10db20b, v0
	s_lshl_b64 s[10:11], s[10:11], 3
                                        ; implicit-def: $vgpr35
                                        ; implicit-def: $vgpr36
                                        ; implicit-def: $vgpr38
                                        ; implicit-def: $vgpr37
                                        ; implicit-def: $vgpr39
	s_wait_kmcnt 0x0
	v_cmp_gt_u64_e32 vcc_lo, s[0:1], v[6:7]
	v_cmp_le_u64_e64 s0, s[0:1], v[6:7]
	s_delay_alu instid0(VALU_DEP_1)
	s_and_saveexec_b32 s1, s0
	s_wait_alu 0xfffe
	s_xor_b32 s0, exec_lo, s1
; %bb.10:
	v_mul_u32_u24_e32 v1, 0xf3, v2
                                        ; implicit-def: $vgpr2
                                        ; implicit-def: $vgpr18_vgpr19
	s_delay_alu instid0(VALU_DEP_1) | instskip(NEXT) | instid1(VALU_DEP_1)
	v_sub_nc_u32_e32 v35, v0, v1
                                        ; implicit-def: $vgpr0
	v_add_nc_u32_e32 v36, 0xf3, v35
	v_add_nc_u32_e32 v38, 0x1e6, v35
	v_add_nc_u32_e32 v37, 0x2d9, v35
	v_add_nc_u32_e32 v39, 0x3cc, v35
; %bb.11:
	s_wait_alu 0xfffe
	s_or_saveexec_b32 s1, s0
	s_add_nc_u64 s[2:3], s[14:15], s[10:11]
                                        ; implicit-def: $vgpr17
                                        ; implicit-def: $vgpr11
                                        ; implicit-def: $vgpr15
                                        ; implicit-def: $vgpr13
                                        ; implicit-def: $vgpr9
                                        ; implicit-def: $vgpr32
                                        ; implicit-def: $vgpr30
                                        ; implicit-def: $vgpr22
                                        ; implicit-def: $vgpr20
                                        ; implicit-def: $vgpr3
                                        ; implicit-def: $vgpr34
                                        ; implicit-def: $vgpr24
                                        ; implicit-def: $vgpr28
                                        ; implicit-def: $vgpr26
                                        ; implicit-def: $vgpr1
	s_wait_alu 0xfffe
	s_xor_b32 exec_lo, exec_lo, s1
	s_cbranch_execz .LBB0_13
; %bb.12:
	v_mul_u32_u24_e32 v1, 0xf3, v2
	s_add_nc_u64 s[10:11], s[12:13], s[10:11]
	s_load_b64 s[10:11], s[10:11], 0x0
	s_delay_alu instid0(VALU_DEP_1) | instskip(SKIP_1) | instid1(VALU_DEP_2)
	v_sub_nc_u32_e32 v35, v0, v1
	v_lshlrev_b64_e32 v[0:1], 3, v[18:19]
	v_mad_co_u64_u32 v[2:3], null, s18, v35, 0
	v_add_nc_u32_e32 v23, 0xb64, v35
	v_add_nc_u32_e32 v21, 0x5b2, v35
	;; [unrolled: 1-line block ×6, first 2 shown]
	v_mad_co_u64_u32 v[16:17], null, s19, v35, v[3:4]
	v_mad_co_u64_u32 v[17:18], null, s18, v23, 0
	v_add_nc_u32_e32 v37, 0x2d9, v35
	s_wait_kmcnt 0x0
	v_mul_lo_u32 v19, s11, v6
	v_mul_lo_u32 v20, s10, v7
	v_mad_co_u64_u32 v[12:13], null, s10, v6, 0
	v_mad_co_u64_u32 v[8:9], null, s18, v37, 0
	v_add_nc_u32_e32 v22, 0x88b, v35
	v_mad_co_u64_u32 v[10:11], null, s18, v21, 0
	v_mad_co_u64_u32 v[31:32], null, s18, v38, 0
	v_add3_u32 v13, v13, v20, v19
	v_mov_b32_e32 v3, v9
	v_mad_co_u64_u32 v[14:15], null, s18, v22, 0
	v_mov_b32_e32 v9, v11
	s_delay_alu instid0(VALU_DEP_4) | instskip(NEXT) | instid1(VALU_DEP_4)
	v_lshlrev_b64_e32 v[12:13], 3, v[12:13]
	v_mad_co_u64_u32 v[19:20], null, s19, v37, v[3:4]
	v_mov_b32_e32 v3, v16
	v_add_nc_u32_e32 v43, 0xa71, v35
	v_mov_b32_e32 v11, v15
	v_mad_co_u64_u32 v[15:16], null, s19, v21, v[9:10]
	s_delay_alu instid0(VALU_DEP_4) | instskip(SKIP_1) | instid1(VALU_DEP_4)
	v_lshlrev_b64_e32 v[2:3], 3, v[2:3]
	v_mov_b32_e32 v9, v19
	v_mad_co_u64_u32 v[20:21], null, s19, v22, v[11:12]
	v_add_co_u32 v11, s0, s4, v12
	s_wait_alu 0xf1ff
	v_add_co_ci_u32_e64 v12, s0, s5, v13, s0
	s_delay_alu instid0(VALU_DEP_2)
	v_add_co_u32 v48, s0, v11, v0
	v_mov_b32_e32 v11, v15
	v_mov_b32_e32 v15, v20
	s_wait_alu 0xf1ff
	v_add_co_ci_u32_e64 v49, s0, v12, v1, s0
	v_lshlrev_b64_e32 v[0:1], 3, v[8:9]
	v_add_co_u32 v2, s0, v48, v2
	v_lshlrev_b64_e32 v[12:13], 3, v[14:15]
	v_mad_co_u64_u32 v[14:15], null, s18, v36, 0
	s_wait_alu 0xf1ff
	v_add_co_ci_u32_e64 v3, s0, v49, v3, s0
	v_add_co_u32 v8, s0, v48, v0
	v_mov_b32_e32 v0, v18
	v_lshlrev_b64_e32 v[10:11], 3, v[10:11]
	s_wait_alu 0xf1ff
	v_add_co_ci_u32_e64 v9, s0, v49, v1, s0
	v_mad_co_u64_u32 v[19:20], null, s18, v39, 0
	v_mad_co_u64_u32 v[0:1], null, s19, v23, v[0:1]
	v_mov_b32_e32 v1, v15
	v_add_co_u32 v10, s0, v48, v10
	s_wait_alu 0xf1ff
	v_add_co_ci_u32_e64 v11, s0, v49, v11, s0
	s_delay_alu instid0(VALU_DEP_3)
	v_mad_co_u64_u32 v[15:16], null, s19, v36, v[1:2]
	v_add_nc_u32_e32 v16, 0x6a5, v35
	v_add_co_u32 v12, s0, v48, v12
	s_wait_alu 0xf1ff
	v_add_co_ci_u32_e64 v13, s0, v49, v13, s0
	v_mov_b32_e32 v18, v0
	s_clause 0x3
	global_load_b64 v[0:1], v[2:3], off
	global_load_b64 v[25:26], v[8:9], off
	;; [unrolled: 1-line block ×4, first 2 shown]
	v_mad_co_u64_u32 v[9:10], null, s18, v16, 0
	v_mov_b32_e32 v8, v20
	v_lshlrev_b64_e32 v[2:3], 3, v[17:18]
	v_add_nc_u32_e32 v18, 0x97e, v35
	s_delay_alu instid0(VALU_DEP_3)
	v_mad_co_u64_u32 v[11:12], null, s19, v39, v[8:9]
	v_mov_b32_e32 v8, v10
	v_lshlrev_b64_e32 v[12:13], 3, v[14:15]
	v_add_co_u32 v2, s0, v48, v2
	v_mad_co_u64_u32 v[14:15], null, s18, v18, 0
	v_mov_b32_e32 v20, v11
	v_mad_co_u64_u32 v[10:11], null, s19, v16, v[8:9]
	s_wait_alu 0xf1ff
	v_add_co_ci_u32_e64 v3, s0, v49, v3, s0
	v_add_co_u32 v11, s0, v48, v12
	s_wait_alu 0xf1ff
	v_add_co_ci_u32_e64 v12, s0, v49, v13, s0
	v_add_nc_u32_e32 v13, 0xc57, v35
	v_lshlrev_b64_e32 v[9:10], 3, v[9:10]
	v_lshlrev_b64_e32 v[16:17], 3, v[19:20]
	v_mov_b32_e32 v8, v15
	s_delay_alu instid0(VALU_DEP_4) | instskip(NEXT) | instid1(VALU_DEP_2)
	v_mad_co_u64_u32 v[29:30], null, s18, v13, 0
	v_mad_co_u64_u32 v[18:19], null, s19, v18, v[8:9]
	s_delay_alu instid0(VALU_DEP_4) | instskip(SKIP_2) | instid1(VALU_DEP_4)
	v_add_co_u32 v16, s0, v48, v16
	s_wait_alu 0xf1ff
	v_add_co_ci_u32_e64 v17, s0, v49, v17, s0
	v_mov_b32_e32 v8, v30
	v_add_co_u32 v9, s0, v48, v9
	v_mov_b32_e32 v15, v18
	s_wait_alu 0xf1ff
	v_add_co_ci_u32_e64 v10, s0, v49, v10, s0
	s_delay_alu instid0(VALU_DEP_3)
	v_mad_co_u64_u32 v[18:19], null, s19, v13, v[8:9]
	s_clause 0x3
	global_load_b64 v[33:34], v[2:3], off
	global_load_b64 v[2:3], v[11:12], off
	;; [unrolled: 1-line block ×4, first 2 shown]
	v_mad_co_u64_u32 v[11:12], null, s18, v40, 0
	v_mov_b32_e32 v10, v32
	v_lshlrev_b64_e32 v[8:9], 3, v[14:15]
	v_mov_b32_e32 v30, v18
	v_add_nc_u32_e32 v18, 0x798, v35
	s_delay_alu instid0(VALU_DEP_4) | instskip(SKIP_1) | instid1(VALU_DEP_3)
	v_mad_co_u64_u32 v[13:14], null, s19, v38, v[10:11]
	v_mov_b32_e32 v10, v12
	v_mad_co_u64_u32 v[14:15], null, s18, v18, 0
	v_lshlrev_b64_e32 v[16:17], 3, v[29:30]
	v_mad_co_u64_u32 v[29:30], null, s18, v43, 0
	v_mov_b32_e32 v32, v13
	v_mad_co_u64_u32 v[12:13], null, s19, v40, v[10:11]
	v_dual_mov_b32 v10, v15 :: v_dual_add_nc_u32 v13, 0xd4a, v35
	v_add_co_u32 v8, s0, v48, v8
	s_wait_alu 0xf1ff
	v_add_co_ci_u32_e64 v9, s0, v49, v9, s0
	s_delay_alu instid0(VALU_DEP_3)
	v_mad_co_u64_u32 v[40:41], null, s19, v18, v[10:11]
	v_mad_co_u64_u32 v[41:42], null, s18, v13, 0
	v_mov_b32_e32 v10, v30
	v_lshlrev_b64_e32 v[30:31], 3, v[31:32]
	v_add_co_u32 v16, s0, v48, v16
	s_wait_alu 0xf1ff
	v_add_co_ci_u32_e64 v17, s0, v49, v17, s0
	v_mad_co_u64_u32 v[43:44], null, s19, v43, v[10:11]
	v_lshlrev_b64_e32 v[11:12], 3, v[11:12]
	v_mov_b32_e32 v10, v42
	v_add_co_u32 v44, s0, v48, v30
	s_wait_alu 0xf1ff
	v_add_co_ci_u32_e64 v45, s0, v49, v31, s0
	s_delay_alu instid0(VALU_DEP_3) | instskip(SKIP_4) | instid1(VALU_DEP_3)
	v_mad_co_u64_u32 v[31:32], null, s19, v13, v[10:11]
	v_dual_mov_b32 v15, v40 :: v_dual_mov_b32 v30, v43
	v_add_co_u32 v10, s0, v48, v11
	s_wait_alu 0xf1ff
	v_add_co_ci_u32_e64 v11, s0, v49, v12, s0
	v_lshlrev_b64_e32 v[13:14], 3, v[14:15]
	v_mov_b32_e32 v42, v31
	v_lshlrev_b64_e32 v[29:30], 3, v[29:30]
	s_delay_alu instid0(VALU_DEP_3) | instskip(NEXT) | instid1(VALU_DEP_3)
	v_add_co_u32 v46, s0, v48, v13
	v_lshlrev_b64_e32 v[12:13], 3, v[41:42]
	s_wait_alu 0xf1ff
	v_add_co_ci_u32_e64 v47, s0, v49, v14, s0
	s_delay_alu instid0(VALU_DEP_4)
	v_add_co_u32 v40, s0, v48, v29
	s_wait_alu 0xf1ff
	v_add_co_ci_u32_e64 v41, s0, v49, v30, s0
	v_add_co_u32 v42, s0, v48, v12
	s_wait_alu 0xf1ff
	v_add_co_ci_u32_e64 v43, s0, v49, v13, s0
	s_clause 0x6
	global_load_b64 v[29:30], v[8:9], off
	global_load_b64 v[31:32], v[16:17], off
	;; [unrolled: 1-line block ×7, first 2 shown]
.LBB0_13:
	s_or_b32 exec_lo, exec_lo, s1
	s_wait_loadcnt 0xa
	v_dual_add_f32 v18, v23, v27 :: v_dual_sub_f32 v41, v26, v34
	v_dual_add_f32 v40, v25, v0 :: v_dual_sub_f32 v47, v27, v25
	;; [unrolled: 1-line block ×3, first 2 shown]
	v_sub_f32_e32 v43, v25, v27
	s_delay_alu instid0(VALU_DEP_4) | instskip(NEXT) | instid1(VALU_DEP_4)
	v_fma_f32 v18, -0.5, v18, v0
	v_add_f32_e32 v40, v27, v40
	s_delay_alu instid0(VALU_DEP_4) | instskip(SKIP_3) | instid1(VALU_DEP_3)
	v_dual_fmac_f32 v0, -0.5, v45 :: v_dual_add_f32 v49, v24, v28
	v_sub_f32_e32 v44, v33, v23
	v_add_f32_e32 v48, v26, v1
	s_load_b64 s[2:3], s[2:3], 0x0
	v_fmamk_f32 v45, v42, 0xbf737871, v0
	s_delay_alu instid0(VALU_DEP_3) | instskip(SKIP_1) | instid1(VALU_DEP_3)
	v_dual_fmamk_f32 v46, v41, 0x3f737871, v18 :: v_dual_add_f32 v43, v44, v43
	v_fmac_f32_e32 v18, 0xbf737871, v41
	v_dual_add_f32 v40, v23, v40 :: v_dual_fmac_f32 v45, 0x3f167918, v41
	s_delay_alu instid0(VALU_DEP_3) | instskip(SKIP_1) | instid1(VALU_DEP_4)
	v_dual_fmac_f32 v46, 0x3f167918, v42 :: v_dual_sub_f32 v25, v25, v33
	v_sub_f32_e32 v44, v23, v33
	v_fmac_f32_e32 v18, 0xbf167918, v42
	s_delay_alu instid0(VALU_DEP_4) | instskip(NEXT) | instid1(VALU_DEP_3)
	v_dual_add_f32 v40, v33, v40 :: v_dual_sub_f32 v23, v27, v23
	v_dual_sub_f32 v27, v26, v28 :: v_dual_add_f32 v44, v44, v47
	v_fmac_f32_e32 v46, 0x3e9e377a, v43
	v_fma_f32 v47, -0.5, v49, v1
	v_dual_fmac_f32 v18, 0x3e9e377a, v43 :: v_dual_sub_f32 v43, v34, v24
	v_fmac_f32_e32 v0, 0x3f737871, v42
	v_fmac_f32_e32 v45, 0x3e9e377a, v44
	v_cmp_gt_u32_e64 s0, 0x87, v35
	s_wait_loadcnt 0x6
	v_add_f32_e32 v49, v30, v22
	v_dual_add_f32 v27, v43, v27 :: v_dual_fmac_f32 v0, 0xbf167918, v41
	v_dual_fmamk_f32 v41, v25, 0xbf737871, v47 :: v_dual_add_f32 v42, v28, v48
	v_fmac_f32_e32 v47, 0x3f737871, v25
	s_delay_alu instid0(VALU_DEP_2) | instskip(NEXT) | instid1(VALU_DEP_3)
	v_fmac_f32_e32 v41, 0xbf167918, v23
	v_add_f32_e32 v33, v24, v42
	v_add_f32_e32 v42, v34, v26
	s_delay_alu instid0(VALU_DEP_4) | instskip(NEXT) | instid1(VALU_DEP_4)
	v_dual_sub_f32 v26, v28, v26 :: v_dual_fmac_f32 v47, 0x3f167918, v23
	v_dual_add_f32 v28, v29, v21 :: v_dual_fmac_f32 v41, 0x3e9e377a, v27
	s_delay_alu instid0(VALU_DEP_3)
	v_dual_fmac_f32 v1, -0.5, v42 :: v_dual_add_f32 v42, v34, v33
	s_wait_loadcnt 0x5
	v_sub_f32_e32 v33, v20, v32
	v_fmac_f32_e32 v47, 0x3e9e377a, v27
	v_fma_f32 v28, -0.5, v28, v2
	v_dual_fmamk_f32 v43, v23, 0x3f737871, v1 :: v_dual_sub_f32 v24, v24, v34
	v_fmac_f32_e32 v1, 0xbf737871, v23
	v_dual_add_f32 v48, v31, v19 :: v_dual_sub_f32 v27, v22, v30
	s_delay_alu instid0(VALU_DEP_3) | instskip(NEXT) | instid1(VALU_DEP_3)
	v_dual_fmac_f32 v43, 0xbf167918, v25 :: v_dual_add_f32 v24, v24, v26
	v_dual_add_f32 v26, v19, v2 :: v_dual_fmac_f32 v1, 0x3f167918, v25
	s_delay_alu instid0(VALU_DEP_2) | instskip(NEXT) | instid1(VALU_DEP_2)
	v_fmac_f32_e32 v43, 0x3e9e377a, v24
	v_dual_add_f32 v23, v21, v26 :: v_dual_fmac_f32 v0, 0x3e9e377a, v44
	v_fmamk_f32 v26, v33, 0x3f737871, v28
	v_sub_f32_e32 v34, v19, v21
	v_dual_sub_f32 v44, v31, v29 :: v_dual_fmac_f32 v1, 0x3e9e377a, v24
	s_delay_alu instid0(VALU_DEP_4) | instskip(SKIP_1) | instid1(VALU_DEP_3)
	v_dual_add_f32 v23, v29, v23 :: v_dual_fmac_f32 v2, -0.5, v48
	v_fmac_f32_e32 v28, 0xbf737871, v33
	v_dual_fmac_f32 v26, 0x3f167918, v27 :: v_dual_add_f32 v25, v44, v34
	s_delay_alu instid0(VALU_DEP_3) | instskip(NEXT) | instid1(VALU_DEP_4)
	v_add_f32_e32 v23, v31, v23
	v_fmamk_f32 v24, v27, 0xbf737871, v2
	v_sub_f32_e32 v34, v21, v19
	v_sub_f32_e32 v44, v29, v31
	v_dual_fmac_f32 v28, 0xbf167918, v27 :: v_dual_sub_f32 v21, v21, v29
	v_fmac_f32_e32 v2, 0x3f737871, v27
	v_sub_f32_e32 v19, v19, v31
	s_delay_alu instid0(VALU_DEP_3) | instskip(SKIP_3) | instid1(VALU_DEP_2)
	v_dual_sub_f32 v29, v20, v22 :: v_dual_fmac_f32 v28, 0x3e9e377a, v25
	v_sub_f32_e32 v31, v32, v30
	v_add_f32_e32 v48, v20, v3
	v_fmac_f32_e32 v26, 0x3e9e377a, v25
	v_dual_fmac_f32 v2, 0xbf167918, v33 :: v_dual_add_f32 v27, v22, v48
	s_delay_alu instid0(VALU_DEP_1) | instskip(SKIP_4) | instid1(VALU_DEP_4)
	v_add_f32_e32 v25, v30, v27
	v_add_f32_e32 v27, v32, v20
	;; [unrolled: 1-line block ×3, first 2 shown]
	v_fma_f32 v44, -0.5, v49, v3
	v_fmac_f32_e32 v24, 0x3f167918, v33
	v_dual_sub_f32 v20, v22, v20 :: v_dual_fmac_f32 v3, -0.5, v27
	v_sub_f32_e32 v22, v30, v32
	s_delay_alu instid0(VALU_DEP_4)
	v_fmamk_f32 v48, v19, 0xbf737871, v44
	s_wait_loadcnt 0x1
	v_dual_fmac_f32 v44, 0x3f737871, v19 :: v_dual_add_f32 v27, v10, v14
	v_fmamk_f32 v49, v21, 0x3f737871, v3
	v_fmac_f32_e32 v24, 0x3e9e377a, v34
	v_fmac_f32_e32 v3, 0xbf737871, v21
	;; [unrolled: 1-line block ×3, first 2 shown]
	v_dual_fmac_f32 v44, 0x3f167918, v21 :: v_dual_add_f32 v21, v12, v8
	v_fmac_f32_e32 v49, 0xbf167918, v19
	v_fma_f32 v27, -0.5, v27, v8
	v_add_f32_e32 v20, v22, v20
	v_fmac_f32_e32 v2, 0x3e9e377a, v34
	v_dual_add_f32 v34, v32, v25 :: v_dual_fmac_f32 v3, 0x3f167918, v19
	v_add_f32_e32 v25, v31, v29
	s_wait_loadcnt 0x0
	v_sub_f32_e32 v22, v13, v17
	v_add_f32_e32 v19, v14, v21
	v_sub_f32_e32 v29, v12, v14
	v_sub_f32_e32 v30, v16, v10
	v_dual_fmac_f32 v48, 0x3e9e377a, v25 :: v_dual_add_f32 v31, v16, v12
	v_fmamk_f32 v21, v22, 0x3f737871, v27
	v_fmac_f32_e32 v27, 0xbf737871, v22
	v_dual_add_f32 v19, v10, v19 :: v_dual_fmac_f32 v44, 0x3e9e377a, v25
	v_sub_f32_e32 v25, v15, v11
	v_dual_fmac_f32 v8, -0.5, v31 :: v_dual_add_f32 v29, v30, v29
	v_fmac_f32_e32 v49, 0x3e9e377a, v20
	v_fmac_f32_e32 v3, 0x3e9e377a, v20
	s_delay_alu instid0(VALU_DEP_4) | instskip(SKIP_3) | instid1(VALU_DEP_4)
	v_fmac_f32_e32 v21, 0x3f167918, v25
	v_dual_fmac_f32 v27, 0xbf167918, v25 :: v_dual_add_f32 v30, v11, v15
	v_dual_fmamk_f32 v20, v25, 0xbf737871, v8 :: v_dual_sub_f32 v31, v14, v12
	v_fmac_f32_e32 v8, 0x3f737871, v25
	v_dual_fmac_f32 v21, 0x3e9e377a, v29 :: v_dual_sub_f32 v32, v10, v16
	s_delay_alu instid0(VALU_DEP_4) | instskip(NEXT) | instid1(VALU_DEP_4)
	v_dual_fmac_f32 v27, 0x3e9e377a, v29 :: v_dual_sub_f32 v12, v12, v16
	v_dual_add_f32 v29, v13, v9 :: v_dual_fmac_f32 v20, 0x3f167918, v22
	v_fma_f32 v50, -0.5, v30, v9
	v_add_f32_e32 v19, v16, v19
	s_delay_alu instid0(VALU_DEP_3) | instskip(SKIP_1) | instid1(VALU_DEP_4)
	v_dual_add_f32 v16, v32, v31 :: v_dual_add_f32 v25, v15, v29
	v_fmac_f32_e32 v8, 0xbf167918, v22
	v_fmamk_f32 v51, v12, 0xbf737871, v50
	v_fmac_f32_e32 v50, 0x3f737871, v12
	s_delay_alu instid0(VALU_DEP_4) | instskip(SKIP_4) | instid1(VALU_DEP_3)
	v_fmac_f32_e32 v20, 0x3e9e377a, v16
	v_add_f32_e32 v22, v11, v25
	v_dual_add_f32 v25, v17, v13 :: v_dual_sub_f32 v10, v14, v10
	v_fmac_f32_e32 v8, 0x3e9e377a, v16
	v_sub_f32_e32 v16, v13, v15
	v_dual_add_f32 v14, v17, v22 :: v_dual_fmac_f32 v9, -0.5, v25
	s_delay_alu instid0(VALU_DEP_4) | instskip(SKIP_1) | instid1(VALU_DEP_3)
	v_dual_fmac_f32 v51, 0xbf167918, v10 :: v_dual_sub_f32 v22, v17, v11
	v_sub_f32_e32 v13, v15, v13
	v_dual_sub_f32 v11, v11, v17 :: v_dual_fmamk_f32 v60, v10, 0x3f737871, v9
	v_lshlrev_b32_e32 v33, 4, v36
	v_fmac_f32_e32 v9, 0xbf737871, v10
	v_dual_add_f32 v15, v22, v16 :: v_dual_fmac_f32 v50, 0x3f167918, v10
	s_delay_alu instid0(VALU_DEP_4)
	v_add_f32_e32 v10, v11, v13
	v_mad_u32_u24 v11, v35, 20, 0
	ds_store_2addr_b32 v11, v40, v46 offset1:1
	ds_store_2addr_b32 v11, v45, v0 offset0:2 offset1:3
	ds_store_b32 v11, v18 offset:16
	v_fmac_f32_e32 v51, 0x3e9e377a, v15
	v_lshlrev_b32_e32 v0, 4, v35
	v_mad_i32_i24 v29, v36, 20, 0
	v_mad_i32_i24 v30, v38, 20, 0
	ds_store_2addr_b32 v29, v23, v26 offset1:1
	ds_store_2addr_b32 v29, v24, v2 offset0:2 offset1:3
	ds_store_b32 v29, v28 offset:16
	v_sub_nc_u32_e32 v22, v11, v0
	ds_store_2addr_b32 v30, v19, v21 offset1:1
	ds_store_2addr_b32 v30, v20, v8 offset0:2 offset1:3
	ds_store_b32 v30, v27 offset:16
	global_wb scope:SCOPE_SE
	s_wait_dscnt 0x0
	s_wait_kmcnt 0x0
	s_barrier_signal -1
	s_barrier_wait -1
	v_add_nc_u32_e32 v31, 0x2200, v22
	global_inv scope:SCOPE_SE
	v_add_nc_u32_e32 v23, 0x12e0, v22
	v_add_nc_u32_e32 v24, 0x29c0, v22
	v_lshl_add_u32 v25, v37, 2, 0
	ds_load_2addr_b32 v[52:53], v31 offset0:11 offset1:254
	v_lshlrev_b32_e32 v32, 4, v38
	ds_load_2addr_b32 v[20:21], v23 offset0:7 offset1:250
	v_add_nc_u32_e32 v28, 0x3140, v22
	v_sub_nc_u32_e32 v0, v29, v33
	v_lshl_add_u32 v27, v39, 2, 0
	v_sub_nc_u32_e32 v2, v30, v32
	ds_load_2addr_b32 v[54:55], v24 offset0:1 offset1:244
	ds_load_b32 v70, v2
	v_add_nc_u32_e32 v26, 0x1a80, v22
	v_and_b32_e32 v8, 0xffff, v36
	v_fmac_f32_e32 v60, 0xbf167918, v12
	v_fmac_f32_e32 v9, 0x3f167918, v12
	;; [unrolled: 1-line block ×3, first 2 shown]
	ds_load_2addr_b32 v[56:57], v26 offset0:5 offset1:248
	ds_load_b32 v71, v22
	ds_load_b32 v72, v25
	ds_load_2addr_b32 v[58:59], v28 offset0:7 offset1:250
	ds_load_b32 v73, v0
	ds_load_b32 v74, v27
	global_wb scope:SCOPE_SE
	s_wait_dscnt 0x0
	v_fmac_f32_e32 v9, 0x3e9e377a, v10
	s_barrier_signal -1
	s_barrier_wait -1
	global_inv scope:SCOPE_SE
	ds_store_2addr_b32 v11, v42, v41 offset1:1
	ds_store_2addr_b32 v11, v43, v1 offset0:2 offset1:3
	ds_store_b32 v11, v47 offset:16
	v_and_b32_e32 v11, 0xff, v35
	ds_store_2addr_b32 v29, v34, v48 offset1:1
	ds_store_2addr_b32 v29, v49, v3 offset0:2 offset1:3
	ds_store_b32 v29, v44 offset:16
	v_mul_u32_u24_e32 v3, 0xcccd, v8
	v_fmac_f32_e32 v60, 0x3e9e377a, v10
	ds_store_2addr_b32 v30, v14, v51 offset1:1
	ds_store_2addr_b32 v30, v60, v9 offset0:2 offset1:3
	ds_store_b32 v30, v50 offset:16
	v_mul_lo_u16 v1, 0xcd, v11
	v_and_b32_e32 v10, 0xffff, v38
	v_lshrrev_b32_e32 v34, 18, v3
	global_wb scope:SCOPE_SE
	s_wait_dscnt 0x0
	s_barrier_signal -1
	v_lshrrev_b16 v9, 10, v1
	v_mul_u32_u24_e32 v12, 0xcccd, v10
	v_mul_lo_u16 v13, v34, 5
	v_and_b32_e32 v1, 0xffff, v37
	s_barrier_wait -1
	v_mul_lo_u16 v3, v9, 5
	v_lshrrev_b32_e32 v75, 18, v12
	v_sub_nc_u16 v12, v36, v13
	v_mul_u32_u24_e32 v15, 0xcccd, v1
	global_inv scope:SCOPE_SE
	v_sub_nc_u16 v14, v35, v3
	v_and_b32_e32 v3, 0xffff, v39
	v_and_b32_e32 v78, 0xffff, v12
	v_lshrrev_b32_e32 v77, 18, v15
	v_mul_lo_u16 v13, v75, 5
	v_and_b32_e32 v9, 0xffff, v9
	v_mul_u32_u24_e32 v12, 0xcccd, v3
	v_lshlrev_b32_e32 v18, 4, v78
	v_mul_lo_u16 v16, v77, 5
	v_sub_nc_u16 v17, v38, v13
	v_mul_u32_u24_e32 v9, 60, v9
	v_lshrrev_b32_e32 v79, 18, v12
	s_delay_alu instid0(VALU_DEP_4) | instskip(NEXT) | instid1(VALU_DEP_4)
	v_sub_nc_u16 v40, v37, v16
	v_and_b32_e32 v80, 0xffff, v17
	global_load_b128 v[16:19], v18, s[8:9]
	v_mul_lo_u16 v41, v79, 5
	s_delay_alu instid0(VALU_DEP_1) | instskip(NEXT) | instid1(VALU_DEP_1)
	v_sub_nc_u16 v44, v39, v41
	v_and_b32_e32 v82, 0xffff, v44
	s_delay_alu instid0(VALU_DEP_1) | instskip(SKIP_3) | instid1(VALU_DEP_2)
	v_lshlrev_b32_e32 v48, 4, v82
	global_load_b128 v[48:51], v48, s[8:9]
	v_and_b32_e32 v81, 0xffff, v40
	v_lshlrev_b32_e32 v40, 4, v80
	v_lshlrev_b32_e32 v45, 4, v81
	s_clause 0x1
	global_load_b128 v[40:43], v40, s[8:9]
	global_load_b128 v[44:47], v45, s[8:9]
	v_and_b32_e32 v76, 0xff, v14
	s_delay_alu instid0(VALU_DEP_1)
	v_lshlrev_b32_e32 v14, 4, v76
	global_load_b128 v[12:15], v14, s[8:9]
	ds_load_2addr_b32 v[60:61], v23 offset0:7 offset1:250
	ds_load_2addr_b32 v[62:63], v31 offset0:11 offset1:254
	;; [unrolled: 1-line block ×4, first 2 shown]
	ds_load_b32 v83, v2
	ds_load_b32 v84, v22
	;; [unrolled: 1-line block ×3, first 2 shown]
	ds_load_2addr_b32 v[68:69], v28 offset0:7 offset1:250
	ds_load_b32 v86, v0
	ds_load_b32 v87, v27
	global_wb scope:SCOPE_SE
	s_wait_loadcnt_dscnt 0x0
	s_barrier_signal -1
	s_barrier_wait -1
	global_inv scope:SCOPE_SE
	v_mul_f32_e32 v90, v61, v17
	v_mul_f32_e32 v17, v21, v17
	;; [unrolled: 1-line block ×4, first 2 shown]
	s_delay_alu instid0(VALU_DEP_4) | instskip(NEXT) | instid1(VALU_DEP_4)
	v_fma_f32 v21, v21, v16, -v90
	v_fmac_f32_e32 v17, v61, v16
	s_delay_alu instid0(VALU_DEP_4) | instskip(NEXT) | instid1(VALU_DEP_4)
	v_fma_f32 v54, v54, v18, -v91
	v_dual_fmac_f32 v19, v64, v18 :: v_dual_mul_f32 v18, v62, v49
	v_mul_f32_e32 v49, v52, v49
	v_mul_f32_e32 v61, v69, v51
	s_delay_alu instid0(VALU_DEP_3) | instskip(SKIP_2) | instid1(VALU_DEP_2)
	v_fma_f32 v18, v52, v48, -v18
	v_mul_f32_e32 v16, v68, v47
	v_mul_f32_e32 v47, v58, v47
	v_fma_f32 v16, v58, v46, -v16
	s_delay_alu instid0(VALU_DEP_2) | instskip(SKIP_4) | instid1(VALU_DEP_4)
	v_fmac_f32_e32 v47, v68, v46
	v_mul_f32_e32 v88, v60, v13
	v_mul_f32_e32 v13, v20, v13
	;; [unrolled: 1-line block ×4, first 2 shown]
	v_fma_f32 v20, v20, v12, -v88
	s_delay_alu instid0(VALU_DEP_4) | instskip(NEXT) | instid1(VALU_DEP_4)
	v_fmac_f32_e32 v13, v60, v12
	v_fma_f32 v12, v53, v14, -v89
	s_delay_alu instid0(VALU_DEP_4)
	v_dual_fmac_f32 v15, v63, v14 :: v_dual_mul_f32 v14, v66, v41
	v_mul_f32_e32 v41, v56, v41
	v_mul_f32_e32 v53, v65, v43
	;; [unrolled: 1-line block ×6, first 2 shown]
	v_fma_f32 v14, v56, v40, -v14
	v_fmac_f32_e32 v41, v66, v40
	v_fma_f32 v40, v55, v42, -v53
	v_dual_fmac_f32 v43, v65, v42 :: v_dual_add_f32 v46, v71, v20
	v_fma_f32 v42, v57, v44, -v60
	v_dual_fmac_f32 v45, v67, v44 :: v_dual_add_f32 v52, v84, v13
	v_fmac_f32_e32 v49, v62, v48
	v_fma_f32 v44, v59, v50, -v61
	v_dual_add_f32 v48, v20, v12 :: v_dual_fmac_f32 v51, v69, v50
	v_sub_f32_e32 v20, v20, v12
	v_sub_f32_e32 v50, v13, v15
	v_dual_add_f32 v13, v13, v15 :: v_dual_add_f32 v58, v70, v14
	v_add_f32_e32 v55, v21, v54
	v_dual_sub_f32 v56, v17, v19 :: v_dual_add_f32 v57, v86, v17
	v_dual_add_f32 v62, v72, v42 :: v_dual_add_f32 v17, v17, v19
	v_add_f32_e32 v66, v74, v18
	v_dual_add_f32 v59, v14, v40 :: v_dual_sub_f32 v64, v45, v47
	v_dual_sub_f32 v60, v41, v43 :: v_dual_add_f32 v61, v83, v41
	v_sub_f32_e32 v68, v49, v51
	v_dual_add_f32 v41, v41, v43 :: v_dual_fmac_f32 v84, -0.5, v13
	v_add_f32_e32 v63, v42, v16
	v_dual_add_f32 v65, v85, v45 :: v_dual_fmac_f32 v70, -0.5, v59
	v_dual_add_f32 v45, v45, v47 :: v_dual_fmac_f32 v86, -0.5, v17
	v_dual_add_f32 v53, v73, v21 :: v_dual_sub_f32 v14, v14, v40
	v_dual_sub_f32 v21, v21, v54 :: v_dual_add_f32 v12, v46, v12
	v_dual_sub_f32 v42, v42, v16 :: v_dual_add_f32 v69, v49, v51
	v_add_f32_e32 v16, v62, v16
	v_dual_fmac_f32 v71, -0.5, v48 :: v_dual_add_f32 v46, v52, v15
	v_dual_add_f32 v67, v18, v44 :: v_dual_fmac_f32 v72, -0.5, v63
	v_fmac_f32_e32 v73, -0.5, v55
	v_fmac_f32_e32 v83, -0.5, v41
	;; [unrolled: 1-line block ×3, first 2 shown]
	v_add_f32_e32 v49, v87, v49
	v_dual_add_f32 v13, v53, v54 :: v_dual_fmac_f32 v74, -0.5, v67
	v_add_f32_e32 v19, v57, v19
	v_add_f32_e32 v15, v58, v40
	;; [unrolled: 1-line block ×3, first 2 shown]
	v_dual_add_f32 v40, v65, v47 :: v_dual_fmamk_f32 v41, v50, 0x3f5db3d7, v71
	v_fmac_f32_e32 v71, 0xbf5db3d7, v50
	v_dual_fmamk_f32 v45, v21, 0xbf5db3d7, v86 :: v_dual_sub_f32 v18, v18, v44
	v_fmamk_f32 v47, v14, 0xbf5db3d7, v83
	v_dual_fmac_f32 v83, 0x3f5db3d7, v14 :: v_dual_fmamk_f32 v14, v64, 0x3f5db3d7, v72
	v_fmac_f32_e32 v72, 0xbf5db3d7, v64
	v_dual_fmamk_f32 v43, v20, 0xbf5db3d7, v84 :: v_dual_fmamk_f32 v48, v42, 0xbf5db3d7, v85
	v_fmac_f32_e32 v84, 0x3f5db3d7, v20
	v_fmamk_f32 v20, v56, 0x3f5db3d7, v73
	v_fmac_f32_e32 v73, 0xbf5db3d7, v56
	v_dual_fmac_f32 v85, 0x3f5db3d7, v42 :: v_dual_add_f32 v42, v66, v44
	v_dual_fmac_f32 v87, -0.5, v69 :: v_dual_add_f32 v44, v49, v51
	v_dual_fmac_f32 v86, 0x3f5db3d7, v21 :: v_dual_lshlrev_b32 v49, 2, v76
	v_fmamk_f32 v21, v60, 0x3f5db3d7, v70
	s_delay_alu instid0(VALU_DEP_3) | instskip(SKIP_1) | instid1(VALU_DEP_4)
	v_fmamk_f32 v51, v18, 0xbf5db3d7, v87
	v_fmac_f32_e32 v87, 0x3f5db3d7, v18
	v_add3_u32 v18, 0, v9, v49
	v_mul_u32_u24_e32 v9, 60, v34
	v_lshlrev_b32_e32 v34, 2, v78
	v_fmamk_f32 v50, v68, 0x3f5db3d7, v74
	ds_store_2addr_b32 v18, v12, v41 offset1:5
	ds_store_b32 v18, v71 offset:40
	v_lshlrev_b32_e32 v12, 2, v80
	v_add3_u32 v34, 0, v9, v34
	v_mul_u32_u24_e32 v9, 60, v75
	v_mul_u32_u24_e32 v41, 60, v77
	v_lshlrev_b32_e32 v49, 2, v81
	v_mul_u32_u24_e32 v52, 60, v79
	v_lshlrev_b32_e32 v53, 2, v82
	v_add3_u32 v54, 0, v9, v12
	v_fmac_f32_e32 v70, 0xbf5db3d7, v60
	v_add3_u32 v41, 0, v41, v49
	v_fmac_f32_e32 v74, 0xbf5db3d7, v68
	v_add3_u32 v49, 0, v52, v53
	ds_store_2addr_b32 v34, v13, v20 offset1:5
	ds_store_b32 v34, v73 offset:40
	ds_store_2addr_b32 v54, v15, v21 offset1:5
	ds_store_b32 v54, v70 offset:40
	;; [unrolled: 2-line block ×4, first 2 shown]
	v_mul_lo_u16 v16, 0x89, v11
	global_wb scope:SCOPE_SE
	s_wait_dscnt 0x0
	s_barrier_signal -1
	s_barrier_wait -1
	global_inv scope:SCOPE_SE
	ds_load_2addr_b32 v[20:21], v23 offset0:7 offset1:250
	ds_load_2addr_b32 v[56:57], v31 offset0:11 offset1:254
	ds_load_2addr_b32 v[58:59], v24 offset0:1 offset1:244
	ds_load_b32 v9, v2
	ds_load_2addr_b32 v[60:61], v26 offset0:5 offset1:248
	ds_load_b32 v14, v22
	ds_load_b32 v12, v25
	ds_load_2addr_b32 v[62:63], v28 offset0:7 offset1:250
	ds_load_b32 v15, v0
	ds_load_b32 v13, v27
	global_wb scope:SCOPE_SE
	s_wait_dscnt 0x0
	s_barrier_signal -1
	s_barrier_wait -1
	global_inv scope:SCOPE_SE
	ds_store_2addr_b32 v18, v46, v43 offset1:5
	ds_store_b32 v18, v84 offset:40
	ds_store_2addr_b32 v34, v19, v45 offset1:5
	ds_store_b32 v34, v86 offset:40
	ds_store_2addr_b32 v54, v17, v47 offset1:5
	v_mul_u32_u24_e32 v17, 0x8889, v8
	v_lshrrev_b16 v34, 11, v16
	v_mul_u32_u24_e32 v18, 0x8889, v10
	ds_store_b32 v54, v83 offset:40
	ds_store_2addr_b32 v41, v40, v48 offset1:5
	ds_store_b32 v41, v85 offset:40
	ds_store_2addr_b32 v49, v44, v51 offset1:5
	ds_store_b32 v49, v87 offset:40
	v_lshrrev_b32_e32 v64, 19, v17
	v_mul_lo_u16 v16, v34, 15
	v_lshrrev_b32_e32 v65, 19, v18
	v_mul_u32_u24_e32 v18, 0x8889, v1
	global_wb scope:SCOPE_SE
	s_wait_dscnt 0x0
	v_mul_lo_u16 v17, v64, 15
	v_sub_nc_u16 v16, v35, v16
	s_barrier_signal -1
	v_lshrrev_b32_e32 v68, 19, v18
	s_barrier_wait -1
	v_sub_nc_u16 v17, v36, v17
	v_and_b32_e32 v66, 0xff, v16
	v_mul_lo_u16 v16, v65, 15
	global_inv scope:SCOPE_SE
	v_mul_lo_u16 v11, 0x6d, v11
	v_and_b32_e32 v67, 0xffff, v17
	v_mul_u32_u24_e32 v17, 0x8889, v3
	v_lshlrev_b32_e32 v18, 4, v66
	v_sub_nc_u16 v44, v38, v16
	v_lshrrev_b16 v11, 8, v11
	v_lshlrev_b32_e32 v40, 4, v67
	v_lshrrev_b32_e32 v69, 19, v17
	s_clause 0x1
	global_load_b128 v[16:19], v18, s[8:9] offset:80
	global_load_b128 v[40:43], v40, s[8:9] offset:80
	v_sub_nc_u16 v73, v35, v11
	v_mul_u32_u24_e32 v77, 0xb4, v65
	v_lshlrev_b32_e32 v65, 2, v66
	v_lshlrev_b32_e32 v80, 2, v67
	v_mul_lo_u16 v45, v68, 15
	v_lshrrev_b16 v73, 1, v73
	v_and_b32_e32 v70, 0xffff, v44
	v_and_b32_e32 v34, 0xffff, v34
	v_mul_u32_u24_e32 v68, 0xb4, v68
	v_sub_nc_u16 v44, v37, v45
	v_and_b32_e32 v73, 0x7f, v73
	v_mul_lo_u16 v45, v69, 15
	v_mul_u32_u24_e32 v69, 0xb4, v69
	v_mul_u32_u24_e32 v74, 0x2d83, v8
	;; [unrolled: 1-line block ×3, first 2 shown]
	v_add_nc_u16 v11, v73, v11
	v_mul_u32_u24_e32 v73, 0xb4, v64
	v_sub_nc_u16 v48, v39, v45
	v_lshrrev_b32_e32 v74, 19, v74
	v_lshrrev_b32_e32 v75, 19, v75
	v_lshrrev_b16 v78, 5, v11
	v_mul_u32_u24_e32 v76, 0x2d83, v1
	v_mul_u32_u24_e32 v10, 0x795d, v10
	v_mul_lo_u16 v11, v74, 45
	v_mul_lo_u16 v79, v75, 45
	;; [unrolled: 1-line block ×3, first 2 shown]
	s_delay_alu instid0(VALU_DEP_3) | instskip(NEXT) | instid1(VALU_DEP_2)
	v_sub_nc_u16 v11, v36, v11
	v_sub_nc_u16 v66, v35, v64
	s_delay_alu instid0(VALU_DEP_1)
	v_and_b32_e32 v81, 0xff, v66
	ds_load_2addr_b32 v[66:67], v31 offset0:11 offset1:254
	s_wait_loadcnt_dscnt 0x100
	v_dual_mul_f32 v91, v67, v19 :: v_dual_and_b32 v72, 0xffff, v48
	v_mul_f32_e32 v19, v57, v19
	v_mul_u32_u24_e32 v34, 0xb4, v34
	s_delay_alu instid0(VALU_DEP_3) | instskip(NEXT) | instid1(VALU_DEP_3)
	v_lshlrev_b32_e32 v52, 4, v72
	v_dual_fmac_f32 v19, v67, v18 :: v_dual_lshlrev_b32 v72, 2, v72
	s_delay_alu instid0(VALU_DEP_3)
	v_add3_u32 v34, 0, v34, v65
	ds_load_2addr_b32 v[64:65], v23 offset0:7 offset1:250
	global_load_b128 v[52:55], v52, s[8:9] offset:80
	v_and_b32_e32 v71, 0xffff, v44
	v_add3_u32 v83, 0, v69, v72
	s_wait_dscnt 0x0
	v_mul_f32_e32 v90, v64, v17
	v_dual_mul_f32 v17, v20, v17 :: v_dual_lshlrev_b32 v46, 4, v70
	v_lshlrev_b32_e32 v70, 2, v70
	s_wait_loadcnt 0x1
	v_mul_f32_e32 v92, v65, v41
	v_fma_f32 v20, v20, v16, -v90
	v_fmac_f32_e32 v17, v64, v16
	global_load_b128 v[44:47], v46, s[8:9] offset:80
	v_lshlrev_b32_e32 v49, 4, v71
	v_lshlrev_b32_e32 v71, 2, v71
	v_add3_u32 v77, 0, v77, v70
	v_mul_f32_e32 v41, v21, v41
	v_add3_u32 v80, 0, v73, v80
	global_load_b128 v[48:51], v49, s[8:9] offset:80
	v_add3_u32 v82, 0, v68, v71
	ds_load_2addr_b32 v[68:69], v24 offset0:1 offset1:244
	ds_load_b32 v85, v2
	ds_load_2addr_b32 v[70:71], v26 offset0:5 offset1:248
	ds_load_b32 v86, v22
	ds_load_b32 v87, v25
	ds_load_2addr_b32 v[72:73], v28 offset0:7 offset1:250
	ds_load_b32 v88, v0
	ds_load_b32 v89, v27
	v_fma_f32 v16, v57, v18, -v91
	v_fma_f32 v21, v21, v40, -v92
	v_fmac_f32_e32 v41, v65, v40
	global_wb scope:SCOPE_SE
	s_wait_loadcnt_dscnt 0x0
	s_barrier_signal -1
	s_barrier_wait -1
	global_inv scope:SCOPE_SE
	v_mul_f32_e32 v18, v68, v43
	v_mul_f32_e32 v43, v58, v43
	s_delay_alu instid0(VALU_DEP_2) | instskip(SKIP_4) | instid1(VALU_DEP_3)
	v_fma_f32 v18, v58, v42, -v18
	v_mul_f32_e32 v58, v66, v53
	v_dual_mul_f32 v64, v69, v47 :: v_dual_mul_f32 v57, v70, v45
	v_mul_f32_e32 v47, v59, v47
	v_mul_f32_e32 v45, v60, v45
	v_fma_f32 v59, v59, v46, -v64
	v_mul_f32_e32 v64, v73, v55
	v_lshlrev_b32_e32 v84, 4, v81
	v_mul_f32_e32 v40, v71, v49
	v_fma_f32 v57, v60, v44, -v57
	v_fmac_f32_e32 v43, v68, v42
	v_dual_mul_f32 v42, v72, v51 :: v_dual_fmac_f32 v45, v70, v44
	s_delay_alu instid0(VALU_DEP_4) | instskip(SKIP_2) | instid1(VALU_DEP_4)
	v_fma_f32 v40, v61, v48, -v40
	v_fma_f32 v44, v56, v52, -v58
	v_mul_f32_e32 v55, v63, v55
	v_fma_f32 v42, v62, v50, -v42
	v_dual_mul_f32 v51, v62, v51 :: v_dual_add_f32 v62, v9, v57
	v_mul_f32_e32 v53, v56, v53
	v_mul_f32_e32 v49, v61, v49
	v_add_f32_e32 v56, v15, v21
	v_sub_f32_e32 v60, v41, v43
	v_add_f32_e32 v70, v13, v44
	v_fmac_f32_e32 v53, v66, v52
	v_dual_fmac_f32 v55, v73, v54 :: v_dual_add_f32 v66, v12, v40
	v_add_f32_e32 v61, v88, v41
	v_add_f32_e32 v67, v40, v42
	v_sub_f32_e32 v40, v40, v42
	v_fmac_f32_e32 v51, v72, v50
	v_add_f32_e32 v50, v20, v16
	v_fmac_f32_e32 v49, v71, v48
	v_add_f32_e32 v48, v14, v20
	v_sub_f32_e32 v52, v17, v19
	v_dual_sub_f32 v20, v20, v16 :: v_dual_fmac_f32 v47, v69, v46
	v_fma_f32 v46, v63, v54, -v64
	s_delay_alu instid0(VALU_DEP_4)
	v_add_f32_e32 v16, v48, v16
	v_dual_add_f32 v54, v86, v17 :: v_dual_add_f32 v17, v17, v19
	v_dual_fmac_f32 v14, -0.5, v50 :: v_dual_add_f32 v41, v41, v43
	v_add_f32_e32 v63, v57, v59
	v_add_f32_e32 v58, v21, v18
	;; [unrolled: 1-line block ×3, first 2 shown]
	v_sub_f32_e32 v44, v44, v46
	v_fmac_f32_e32 v86, -0.5, v17
	v_sub_f32_e32 v72, v53, v55
	v_sub_f32_e32 v68, v49, v51
	;; [unrolled: 1-line block ×3, first 2 shown]
	v_add_f32_e32 v46, v70, v46
	v_dual_sub_f32 v21, v21, v18 :: v_dual_fmac_f32 v88, -0.5, v41
	v_dual_fmamk_f32 v48, v52, 0x3f5db3d7, v14 :: v_dual_fmac_f32 v9, -0.5, v63
	v_add_f32_e32 v17, v56, v18
	v_fmac_f32_e32 v15, -0.5, v58
	v_add_f32_e32 v69, v87, v49
	v_dual_add_f32 v49, v49, v51 :: v_dual_add_f32 v42, v66, v42
	v_add_f32_e32 v18, v61, v43
	v_dual_add_f32 v65, v85, v45 :: v_dual_fmac_f32 v12, -0.5, v67
	v_dual_add_f32 v45, v45, v47 :: v_dual_fmac_f32 v14, 0xbf5db3d7, v52
	v_fmamk_f32 v50, v21, 0xbf5db3d7, v88
	v_dual_fmac_f32 v88, 0x3f5db3d7, v21 :: v_dual_fmamk_f32 v21, v64, 0x3f5db3d7, v9
	v_fmac_f32_e32 v9, 0xbf5db3d7, v64
	v_and_b32_e32 v64, 0xffff, v11
	v_sub_nc_u16 v11, v38, v79
	v_fmac_f32_e32 v85, -0.5, v45
	v_fmac_f32_e32 v87, -0.5, v49
	v_sub_f32_e32 v57, v57, v59
	v_fmamk_f32 v49, v20, 0xbf5db3d7, v86
	v_and_b32_e32 v66, 0xffff, v11
	v_dual_fmac_f32 v13, -0.5, v71 :: v_dual_fmac_f32 v86, 0x3f5db3d7, v20
	v_fmamk_f32 v20, v60, 0x3f5db3d7, v15
	v_fmac_f32_e32 v15, 0xbf5db3d7, v60
	v_add_f32_e32 v41, v62, v59
	v_dual_add_f32 v73, v89, v53 :: v_dual_fmamk_f32 v52, v68, 0x3f5db3d7, v12
	v_dual_add_f32 v53, v53, v55 :: v_dual_fmac_f32 v12, 0xbf5db3d7, v68
	v_dual_add_f32 v19, v54, v19 :: v_dual_fmamk_f32 v60, v40, 0xbf5db3d7, v87
	v_fmac_f32_e32 v87, 0x3f5db3d7, v40
	v_fmamk_f32 v40, v72, 0x3f5db3d7, v13
	v_fmac_f32_e32 v13, 0xbf5db3d7, v72
	ds_store_2addr_b32 v34, v16, v48 offset1:15
	ds_store_b32 v34, v14 offset:120
	ds_store_2addr_b32 v80, v17, v20 offset1:15
	ds_store_b32 v80, v15 offset:120
	;; [unrolled: 2-line block ×5, first 2 shown]
	v_mul_u32_u24_e32 v9, 0x2d83, v3
	v_fmac_f32_e32 v89, -0.5, v53
	v_add_f32_e32 v43, v65, v47
	v_dual_add_f32 v45, v69, v51 :: v_dual_lshlrev_b32 v70, 2, v64
	s_delay_alu instid0(VALU_DEP_4)
	v_lshrrev_b32_e32 v62, 19, v9
	v_fmamk_f32 v51, v57, 0xbf5db3d7, v85
	v_fmac_f32_e32 v85, 0x3f5db3d7, v57
	global_wb scope:SCOPE_SE
	s_wait_dscnt 0x0
	s_barrier_signal -1
	v_mul_lo_u16 v11, v62, 45
	s_barrier_wait -1
	global_inv scope:SCOPE_SE
	v_lshlrev_b32_e32 v16, 4, v64
	v_lshlrev_b32_e32 v40, 4, v66
	v_sub_nc_u16 v11, v39, v11
	v_mul_u32_u24_e32 v63, 0x795d, v3
	v_mul_u32_u24_e32 v69, 0x21c, v75
	v_lshlrev_b32_e32 v66, 2, v66
	v_mul_u32_u24_e32 v3, 0x43a3, v3
	v_and_b32_e32 v68, 0xffff, v11
	v_add_f32_e32 v47, v73, v55
	ds_load_2addr_b32 v[20:21], v23 offset0:7 offset1:250
	ds_load_2addr_b32 v[52:53], v31 offset0:11 offset1:254
	;; [unrolled: 1-line block ×3, first 2 shown]
	ds_load_b32 v72, v2
	ds_load_2addr_b32 v[56:57], v26 offset0:5 offset1:248
	ds_load_b32 v73, v22
	ds_load_b32 v90, v25
	ds_load_2addr_b32 v[58:59], v28 offset0:7 offset1:250
	ds_load_b32 v91, v0
	ds_load_b32 v92, v27
	v_fmamk_f32 v61, v44, 0xbf5db3d7, v89
	v_fmac_f32_e32 v89, 0x3f5db3d7, v44
	global_wb scope:SCOPE_SE
	s_wait_dscnt 0x0
	s_barrier_signal -1
	s_barrier_wait -1
	global_inv scope:SCOPE_SE
	v_lshlrev_b32_e32 v11, 4, v68
	v_lshlrev_b32_e32 v68, 2, v68
	ds_store_2addr_b32 v34, v19, v49 offset1:15
	ds_store_b32 v34, v86 offset:120
	ds_store_2addr_b32 v80, v18, v50 offset1:15
	ds_store_b32 v80, v88 offset:120
	ds_store_2addr_b32 v77, v43, v51 offset1:15
	ds_store_b32 v77, v85 offset:120
	ds_store_2addr_b32 v82, v45, v60 offset1:15
	ds_store_b32 v82, v87 offset:120
	ds_store_2addr_b32 v83, v47, v61 offset1:15
	ds_store_b32 v83, v89 offset:120
	global_wb scope:SCOPE_SE
	s_wait_dscnt 0x0
	s_barrier_signal -1
	s_barrier_wait -1
	global_inv scope:SCOPE_SE
	s_clause 0x2
	global_load_b128 v[12:15], v84, s[8:9] offset:320
	global_load_b128 v[16:19], v16, s[8:9] offset:320
	;; [unrolled: 1-line block ×3, first 2 shown]
	v_lshrrev_b32_e32 v34, 19, v76
	v_mul_u32_u24_e32 v60, 0x795d, v8
	v_mul_u32_u24_e32 v61, 0x795d, v1
	v_lshrrev_b32_e32 v77, 22, v10
	v_lshrrev_b32_e32 v80, 22, v63
	v_mul_lo_u16 v9, v34, 45
	v_lshrrev_b32_e32 v76, 22, v60
	v_lshrrev_b32_e32 v79, 22, v61
	v_mul_lo_u16 v65, 0x87, v77
	v_mul_u32_u24_e32 v34, 0x21c, v34
	v_sub_nc_u16 v9, v37, v9
	v_mul_lo_u16 v63, 0x87, v76
	v_add3_u32 v83, 0, v69, v66
	v_sub_nc_u16 v75, v38, v65
	v_mul_u32_u24_e32 v10, 0x21c, v74
	v_and_b32_e32 v67, 0xffff, v9
	v_mul_lo_u16 v74, 0x87, v79
	v_mul_u32_u24_e32 v1, 0x43a3, v1
	v_lshrrev_b32_e32 v3, 16, v3
	v_add3_u32 v10, 0, v10, v70
	v_lshlrev_b32_e32 v9, 4, v67
	s_clause 0x1
	global_load_b128 v[44:47], v9, s[8:9] offset:320
	global_load_b128 v[48:51], v11, s[8:9] offset:320
	v_add_nc_u32_e32 v11, 0xffffff79, v35
	v_mov_b32_e32 v9, 0
	ds_load_2addr_b32 v[64:65], v31 offset0:11 offset1:254
	v_lshrrev_b32_e32 v1, 16, v1
	s_wait_alu 0xf1ff
	v_cndmask_b32_e64 v11, v11, v35, s0
	s_delay_alu instid0(VALU_DEP_1) | instskip(NEXT) | instid1(VALU_DEP_1)
	v_lshlrev_b32_e32 v8, 1, v11
	v_lshlrev_b64_e32 v[60:61], 3, v[8:9]
	v_mul_u32_u24_e32 v8, 0x21c, v62
	v_sub_nc_u16 v62, v36, v63
	s_delay_alu instid0(VALU_DEP_2) | instskip(NEXT) | instid1(VALU_DEP_2)
	v_add3_u32 v8, 0, v8, v68
	v_and_b32_e32 v82, 0xffff, v62
	ds_load_2addr_b32 v[62:63], v23 offset0:7 offset1:250
	v_add_co_u32 v60, s0, s8, v60
	s_wait_alu 0xf1ff
	v_add_co_ci_u32_e64 v61, s0, s9, v61, s0
	v_cmp_lt_u32_e64 s0, 0x86, v35
	s_wait_loadcnt_dscnt 0x400
	v_mul_f32_e32 v87, v62, v13
	v_dual_mul_f32 v13, v20, v13 :: v_dual_mul_f32 v88, v65, v15
	v_mul_f32_e32 v15, v53, v15
	s_delay_alu instid0(VALU_DEP_3) | instskip(NEXT) | instid1(VALU_DEP_3)
	v_fma_f32 v20, v20, v12, -v87
	v_fmac_f32_e32 v13, v62, v12
	s_delay_alu instid0(VALU_DEP_4) | instskip(SKIP_3) | instid1(VALU_DEP_2)
	v_fma_f32 v12, v53, v14, -v88
	s_wait_loadcnt 0x3
	v_mul_f32_e32 v53, v63, v17
	v_mul_f32_e32 v17, v21, v17
	v_fma_f32 v21, v21, v16, -v53
	v_lshlrev_b32_e32 v67, 2, v67
	s_delay_alu instid0(VALU_DEP_3)
	v_fmac_f32_e32 v17, v63, v16
	s_wait_loadcnt 0x2
	v_dual_mul_f32 v16, v56, v41 :: v_dual_and_b32 v71, 0xffff, v78
	v_lshlrev_b32_e32 v78, 4, v82
	v_add3_u32 v34, 0, v34, v67
	ds_load_2addr_b32 v[66:67], v24 offset0:1 offset1:244
	ds_load_b32 v84, v2
	ds_load_2addr_b32 v[68:69], v26 offset0:5 offset1:248
	ds_load_b32 v85, v22
	ds_load_b32 v86, v25
	v_mul_u32_u24_e32 v71, 0x21c, v71
	s_wait_dscnt 0x4
	v_mul_f32_e32 v62, v66, v19
	v_mul_f32_e32 v19, v54, v19
	s_wait_dscnt 0x2
	v_mul_f32_e32 v53, v68, v41
	v_dual_mul_f32 v41, v67, v43 :: v_dual_fmac_f32 v16, v68, v40
	v_fma_f32 v54, v54, v18, -v62
	v_dual_fmac_f32 v19, v66, v18 :: v_dual_mul_f32 v18, v55, v43
	v_lshlrev_b32_e32 v81, 2, v81
	s_delay_alu instid0(VALU_DEP_4)
	v_fma_f32 v41, v55, v42, -v41
	s_wait_loadcnt 0x0
	v_mul_f32_e32 v55, v64, v49
	v_fma_f32 v53, v56, v40, -v53
	v_fmac_f32_e32 v18, v67, v42
	v_mul_f32_e32 v42, v52, v49
	v_mul_f32_e32 v40, v59, v51
	v_add_f32_e32 v56, v21, v54
	s_delay_alu instid0(VALU_DEP_4) | instskip(NEXT) | instid1(VALU_DEP_4)
	v_sub_f32_e32 v63, v16, v18
	v_fmac_f32_e32 v42, v64, v48
	v_add_f32_e32 v64, v84, v16
	v_add3_u32 v81, 0, v71, v81
	ds_load_2addr_b32 v[70:71], v28 offset0:7 offset1:250
	v_dual_mul_f32 v43, v69, v45 :: v_dual_add_f32 v16, v16, v18
	v_add_f32_e32 v18, v64, v18
	s_delay_alu instid0(VALU_DEP_2) | instskip(NEXT) | instid1(VALU_DEP_3)
	v_fma_f32 v43, v57, v44, -v43
	v_fmac_f32_e32 v84, -0.5, v16
	s_delay_alu instid0(VALU_DEP_2) | instskip(SKIP_1) | instid1(VALU_DEP_1)
	v_dual_add_f32 v66, v90, v43 :: v_dual_mul_f32 v45, v57, v45
	s_wait_dscnt 0x0
	v_dual_fmac_f32 v45, v69, v44 :: v_dual_mul_f32 v62, v70, v47
	v_dual_mul_f32 v47, v58, v47 :: v_dual_fmac_f32 v40, v71, v50
	s_delay_alu instid0(VALU_DEP_2) | instskip(NEXT) | instid1(VALU_DEP_2)
	v_fma_f32 v44, v58, v46, -v62
	v_dual_fmac_f32 v47, v70, v46 :: v_dual_add_f32 v62, v53, v41
	s_delay_alu instid0(VALU_DEP_3) | instskip(NEXT) | instid1(VALU_DEP_3)
	v_sub_f32_e32 v87, v42, v40
	v_add_f32_e32 v67, v43, v44
	v_sub_f32_e32 v43, v43, v44
	v_add_f32_e32 v16, v66, v44
	s_delay_alu instid0(VALU_DEP_3) | instskip(SKIP_2) | instid1(VALU_DEP_2)
	v_fmac_f32_e32 v90, -0.5, v67
	v_fma_f32 v46, v52, v48, -v55
	v_add_f32_e32 v52, v85, v13
	v_add_f32_e32 v70, v92, v46
	v_fmac_f32_e32 v15, v65, v14
	ds_load_b32 v14, v0
	ds_load_b32 v65, v27
	v_mul_f32_e32 v49, v71, v51
	global_wb scope:SCOPE_SE
	s_wait_dscnt 0x0
	s_barrier_signal -1
	s_barrier_wait -1
	global_inv scope:SCOPE_SE
	v_fma_f32 v48, v59, v50, -v49
	v_dual_add_f32 v59, v72, v53 :: v_dual_fmac_f32 v72, -0.5, v62
	v_add_f32_e32 v50, v20, v12
	s_delay_alu instid0(VALU_DEP_3) | instskip(SKIP_3) | instid1(VALU_DEP_4)
	v_add_f32_e32 v71, v46, v48
	v_sub_f32_e32 v46, v46, v48
	v_add_f32_e32 v44, v70, v48
	v_mul_u32_u24_e32 v70, 0x654, v79
	v_dual_fmac_f32 v92, -0.5, v71 :: v_dual_add_f32 v69, v86, v45
	v_sub_f32_e32 v53, v53, v41
	v_add_f32_e32 v58, v14, v17
	v_add_f32_e32 v88, v65, v42
	;; [unrolled: 1-line block ×3, first 2 shown]
	v_mul_u32_u24_e32 v71, 0x654, v80
	v_fmamk_f32 v48, v53, 0xbf5db3d7, v84
	s_delay_alu instid0(VALU_DEP_4)
	v_add_f32_e32 v40, v88, v40
	v_sub_f32_e32 v68, v45, v47
	v_add_f32_e32 v45, v45, v47
	v_sub_f32_e32 v57, v17, v19
	;; [unrolled: 2-line block ×3, first 2 shown]
	s_delay_alu instid0(VALU_DEP_4) | instskip(SKIP_2) | instid1(VALU_DEP_2)
	v_dual_fmac_f32 v91, -0.5, v56 :: v_dual_fmac_f32 v86, -0.5, v45
	v_add_f32_e32 v17, v17, v19
	v_fmac_f32_e32 v65, -0.5, v42
	v_dual_add_f32 v19, v58, v19 :: v_dual_fmac_f32 v14, -0.5, v17
	v_sub_f32_e32 v51, v13, v15
	v_add_f32_e32 v17, v59, v41
	v_add_f32_e32 v41, v69, v47
	v_mul_u32_u24_e32 v69, 0x654, v77
	v_fmamk_f32 v47, v21, 0xbf5db3d7, v14
	v_dual_fmac_f32 v14, 0x3f5db3d7, v21 :: v_dual_add_f32 v49, v73, v20
	v_dual_fmac_f32 v73, -0.5, v50 :: v_dual_fmamk_f32 v50, v43, 0xbf5db3d7, v86
	v_fmac_f32_e32 v86, 0x3f5db3d7, v43
	v_fmamk_f32 v43, v87, 0x3f5db3d7, v92
	v_fmac_f32_e32 v92, 0xbf5db3d7, v87
	v_dual_add_f32 v13, v13, v15 :: v_dual_fmac_f32 v84, 0x3f5db3d7, v53
	v_sub_f32_e32 v20, v20, v12
	v_dual_add_f32 v15, v52, v15 :: v_dual_fmamk_f32 v42, v51, 0x3f5db3d7, v73
	s_delay_alu instid0(VALU_DEP_3) | instskip(SKIP_2) | instid1(VALU_DEP_3)
	v_dual_fmac_f32 v85, -0.5, v13 :: v_dual_add_f32 v12, v49, v12
	v_fmac_f32_e32 v73, 0xbf5db3d7, v51
	v_fmamk_f32 v49, v68, 0x3f5db3d7, v90
	v_dual_fmac_f32 v90, 0xbf5db3d7, v68 :: v_dual_fmamk_f32 v45, v20, 0xbf5db3d7, v85
	v_fmac_f32_e32 v85, 0x3f5db3d7, v20
	v_dual_fmamk_f32 v20, v57, 0x3f5db3d7, v91 :: v_dual_add_f32 v13, v55, v54
	v_fmac_f32_e32 v91, 0xbf5db3d7, v57
	v_fmamk_f32 v21, v63, 0x3f5db3d7, v72
	v_dual_fmac_f32 v72, 0xbf5db3d7, v63 :: v_dual_fmamk_f32 v51, v46, 0xbf5db3d7, v65
	v_fmac_f32_e32 v65, 0x3f5db3d7, v46
	ds_store_2addr_b32 v81, v12, v42 offset1:45
	ds_store_b32 v81, v73 offset:360
	ds_store_2addr_b32 v10, v13, v20 offset1:45
	ds_store_b32 v10, v91 offset:360
	;; [unrolled: 2-line block ×5, first 2 shown]
	global_wb scope:SCOPE_SE
	s_wait_dscnt 0x0
	s_barrier_signal -1
	s_barrier_wait -1
	global_inv scope:SCOPE_SE
	ds_load_2addr_b32 v[52:53], v23 offset0:7 offset1:250
	ds_load_2addr_b32 v[54:55], v31 offset0:11 offset1:254
	;; [unrolled: 1-line block ×3, first 2 shown]
	ds_load_b32 v87, v2
	ds_load_2addr_b32 v[58:59], v26 offset0:5 offset1:248
	ds_load_b32 v88, v22
	ds_load_b32 v89, v25
	ds_load_2addr_b32 v[62:63], v28 offset0:7 offset1:250
	ds_load_b32 v90, v0
	ds_load_b32 v91, v27
	global_wb scope:SCOPE_SE
	s_wait_dscnt 0x0
	s_barrier_signal -1
	s_barrier_wait -1
	global_inv scope:SCOPE_SE
	ds_store_2addr_b32 v81, v15, v45 offset1:45
	ds_store_b32 v81, v85 offset:360
	ds_store_2addr_b32 v10, v19, v47 offset1:45
	ds_store_b32 v10, v14 offset:360
	;; [unrolled: 2-line block ×5, first 2 shown]
	global_wb scope:SCOPE_SE
	s_wait_dscnt 0x0
	s_barrier_signal -1
	s_barrier_wait -1
	global_inv scope:SCOPE_SE
	global_load_b128 v[18:21], v78, s[8:9] offset:1040
	v_sub_nc_u16 v10, v37, v74
	global_load_b128 v[12:15], v[60:61], off offset:1040
	v_and_b32_e32 v34, 0xffff, v75
	v_mul_lo_u16 v8, 0x87, v80
	v_sub_nc_u16 v60, v39, v3
	v_and_b32_e32 v66, 0xffff, v10
	v_mul_u32_u24_e32 v68, 0x654, v76
	v_lshlrev_b32_e32 v16, 4, v34
	v_sub_nc_u16 v8, v39, v8
	v_lshrrev_b16 v72, 1, v60
	v_lshlrev_b32_e32 v10, 4, v66
	v_lshlrev_b32_e32 v34, 2, v34
	global_load_b128 v[40:43], v16, s[8:9] offset:1040
	v_and_b32_e32 v67, 0xffff, v8
	s_wait_alu 0xf1ff
	v_cndmask_b32_e64 v16, 0, 0x654, s0
	global_load_b128 v[44:47], v10, s[8:9] offset:1040
	v_cmp_gt_u32_e64 s0, 0xa2, v35
	v_add_nc_u16 v3, v72, v3
	v_lshlrev_b32_e32 v8, 4, v67
	v_lshlrev_b32_e32 v72, 2, v66
	v_add3_u32 v34, 0, v69, v34
	s_delay_alu instid0(VALU_DEP_4)
	v_lshrrev_b16 v3, 8, v3
	global_load_b128 v[48:51], v8, s[8:9] offset:1040
	v_add_nc_u32_e32 v8, 0xffffff5e, v35
	v_add3_u32 v76, 0, v70, v72
	v_mul_lo_u16 v3, 0x195, v3
	s_wait_alu 0xf1ff
	s_delay_alu instid0(VALU_DEP_3) | instskip(SKIP_1) | instid1(VALU_DEP_3)
	v_cndmask_b32_e64 v74, v8, v36, s0
	v_dual_mov_b32 v11, v9 :: v_dual_lshlrev_b32 v8, 2, v11
	v_sub_nc_u16 v3, v39, v3
	s_delay_alu instid0(VALU_DEP_3) | instskip(NEXT) | instid1(VALU_DEP_3)
	v_lshlrev_b32_e32 v10, 1, v74
	v_add3_u32 v75, 0, v16, v8
	v_sub_nc_u16 v16, v37, v1
	v_lshlrev_b32_e32 v8, 1, v35
	v_and_b32_e32 v3, 0xffff, v3
	v_lshlrev_b64_e32 v[10:11], 3, v[10:11]
	s_delay_alu instid0(VALU_DEP_4) | instskip(NEXT) | instid1(VALU_DEP_4)
	v_lshrrev_b16 v61, 1, v16
	v_lshlrev_b64_e32 v[16:17], 3, v[8:9]
	v_add_nc_u32_e32 v8, 0xa2, v8
	s_delay_alu instid0(VALU_DEP_4) | instskip(NEXT) | instid1(VALU_DEP_4)
	v_add_co_u32 v60, s0, s8, v10
	v_add_nc_u16 v1, v61, v1
	s_wait_alu 0xf1ff
	v_add_co_ci_u32_e64 v61, s0, s9, v11, s0
	ds_load_2addr_b32 v[10:11], v23 offset0:7 offset1:250
	v_lshlrev_b64_e32 v[64:65], 3, v[8:9]
	v_lshrrev_b16 v1, 8, v1
	v_lshlrev_b32_e32 v8, 2, v82
	v_add_co_u32 v16, s0, s8, v16
	s_wait_alu 0xf1ff
	v_add_co_ci_u32_e64 v17, s0, s9, v17, s0
	v_mul_lo_u16 v66, 0x195, v1
	v_add3_u32 v8, 0, v68, v8
	s_delay_alu instid0(VALU_DEP_2) | instskip(NEXT) | instid1(VALU_DEP_1)
	v_sub_nc_u16 v68, v37, v66
	v_and_b32_e32 v78, 0xffff, v68
	s_wait_loadcnt_dscnt 0x400
	v_mul_f32_e32 v86, v11, v19
	s_wait_loadcnt 0x3
	v_dual_mul_f32 v19, v53, v19 :: v_dual_mul_f32 v84, v10, v13
	s_delay_alu instid0(VALU_DEP_2)
	v_fma_f32 v53, v53, v18, -v86
	v_lshlrev_b32_e32 v73, 2, v67
	ds_load_2addr_b32 v[66:67], v31 offset0:11 offset1:254
	v_fmac_f32_e32 v19, v11, v18
	v_mul_f32_e32 v13, v52, v13
	v_fma_f32 v52, v52, v12, -v84
	v_add3_u32 v77, 0, v71, v73
	ds_load_2addr_b32 v[68:69], v24 offset0:1 offset1:244
	ds_load_b32 v79, v2
	ds_load_2addr_b32 v[70:71], v26 offset0:5 offset1:248
	ds_load_b32 v80, v22
	ds_load_b32 v81, v25
	ds_load_2addr_b32 v[72:73], v28 offset0:7 offset1:250
	ds_load_b32 v82, v0
	ds_load_b32 v83, v27
	global_wb scope:SCOPE_SE
	s_wait_loadcnt_dscnt 0x0
	v_fmac_f32_e32 v13, v10, v12
	s_barrier_signal -1
	v_mul_f32_e32 v18, v59, v45
	s_barrier_wait -1
	global_inv scope:SCOPE_SE
	v_mul_f32_e32 v12, v68, v21
	v_mul_f32_e32 v11, v71, v45
	v_dual_mul_f32 v45, v62, v47 :: v_dual_fmac_f32 v18, v71, v44
	s_delay_alu instid0(VALU_DEP_3) | instskip(NEXT) | instid1(VALU_DEP_3)
	v_fma_f32 v12, v56, v20, -v12
	v_fma_f32 v11, v59, v44, -v11
	s_delay_alu instid0(VALU_DEP_3) | instskip(SKIP_2) | instid1(VALU_DEP_2)
	v_fmac_f32_e32 v45, v72, v46
	v_mul_f32_e32 v85, v67, v15
	v_dual_mul_f32 v15, v55, v15 :: v_dual_add_f32 v44, v88, v52
	v_fma_f32 v10, v55, v14, -v85
	v_mul_f32_e32 v55, v69, v43
	v_mul_f32_e32 v43, v57, v43
	s_delay_alu instid0(VALU_DEP_2) | instskip(NEXT) | instid1(VALU_DEP_2)
	v_fma_f32 v55, v57, v42, -v55
	v_fmac_f32_e32 v43, v69, v42
	v_dual_fmac_f32 v15, v67, v14 :: v_dual_mul_f32 v14, v56, v21
	v_mul_f32_e32 v21, v70, v41
	v_dual_mul_f32 v41, v58, v41 :: v_dual_mul_f32 v56, v73, v51
	s_delay_alu instid0(VALU_DEP_3) | instskip(NEXT) | instid1(VALU_DEP_2)
	v_dual_mul_f32 v51, v63, v51 :: v_dual_fmac_f32 v14, v68, v20
	v_dual_mul_f32 v20, v72, v47 :: v_dual_fmac_f32 v41, v70, v40
	s_delay_alu instid0(VALU_DEP_3) | instskip(SKIP_1) | instid1(VALU_DEP_3)
	v_fma_f32 v42, v63, v50, -v56
	v_dual_add_f32 v69, v81, v18 :: v_dual_sub_f32 v68, v18, v45
	v_fma_f32 v20, v62, v46, -v20
	v_add_f32_e32 v46, v52, v10
	v_dual_sub_f32 v62, v41, v43 :: v_dual_mul_f32 v47, v66, v49
	s_delay_alu instid0(VALU_DEP_3) | instskip(NEXT) | instid1(VALU_DEP_3)
	v_dual_add_f32 v18, v18, v45 :: v_dual_add_f32 v67, v11, v20
	v_fmac_f32_e32 v88, -0.5, v46
	v_fmac_f32_e32 v51, v73, v50
	v_sub_f32_e32 v50, v52, v10
	v_add_f32_e32 v52, v90, v53
	v_dual_mul_f32 v49, v54, v49 :: v_dual_add_f32 v10, v44, v10
	v_fmac_f32_e32 v81, -0.5, v18
	s_delay_alu instid0(VALU_DEP_2) | instskip(SKIP_3) | instid1(VALU_DEP_4)
	v_dual_fmac_f32 v49, v66, v48 :: v_dual_add_f32 v66, v89, v11
	v_fma_f32 v21, v58, v40, -v21
	v_fma_f32 v40, v54, v48, -v47
	v_add_f32_e32 v54, v53, v12
	v_sub_f32_e32 v72, v49, v51
	v_sub_f32_e32 v56, v19, v14
	v_add_f32_e32 v48, v80, v13
	v_dual_add_f32 v70, v91, v40 :: v_dual_sub_f32 v47, v13, v15
	v_add_f32_e32 v13, v13, v15
	v_sub_f32_e32 v11, v11, v20
	v_add_f32_e32 v71, v40, v42
	v_sub_f32_e32 v40, v40, v42
	v_dual_add_f32 v44, v48, v15 :: v_dual_add_f32 v15, v66, v20
	v_add_f32_e32 v18, v70, v42
	v_fmamk_f32 v42, v47, 0x3f5db3d7, v88
	v_add_f32_e32 v20, v69, v45
	v_dual_add_f32 v73, v83, v49 :: v_dual_fmac_f32 v88, 0xbf5db3d7, v47
	v_dual_add_f32 v49, v49, v51 :: v_dual_fmac_f32 v90, -0.5, v54
	v_dual_add_f32 v57, v82, v19 :: v_dual_add_f32 v58, v87, v21
	v_fmac_f32_e32 v80, -0.5, v13
	s_delay_alu instid0(VALU_DEP_3)
	v_fmac_f32_e32 v83, -0.5, v49
	v_sub_f32_e32 v53, v53, v12
	v_add_f32_e32 v19, v19, v14
	v_fmamk_f32 v45, v56, 0x3f5db3d7, v90
	v_dual_fmac_f32 v90, 0xbf5db3d7, v56 :: v_dual_add_f32 v13, v57, v14
	v_add_f32_e32 v14, v58, v55
	s_delay_alu instid0(VALU_DEP_4) | instskip(SKIP_3) | instid1(VALU_DEP_4)
	v_dual_fmac_f32 v82, -0.5, v19 :: v_dual_add_f32 v63, v79, v41
	v_add_f32_e32 v41, v41, v43
	v_fmac_f32_e32 v89, -0.5, v67
	v_dual_fmac_f32 v91, -0.5, v71 :: v_dual_add_f32 v12, v52, v12
	v_add_f32_e32 v19, v63, v43
	v_fmamk_f32 v43, v50, 0xbf5db3d7, v80
	v_fmac_f32_e32 v80, 0x3f5db3d7, v50
	v_dual_fmamk_f32 v50, v40, 0xbf5db3d7, v83 :: v_dual_add_f32 v59, v21, v55
	v_sub_f32_e32 v21, v21, v55
	v_dual_fmac_f32 v79, -0.5, v41 :: v_dual_fmamk_f32 v46, v53, 0xbf5db3d7, v82
	s_delay_alu instid0(VALU_DEP_3) | instskip(SKIP_1) | instid1(VALU_DEP_3)
	v_dual_fmac_f32 v82, 0x3f5db3d7, v53 :: v_dual_fmac_f32 v87, -0.5, v59
	v_add_f32_e32 v41, v73, v51
	v_fmamk_f32 v48, v21, 0xbf5db3d7, v79
	v_fmac_f32_e32 v79, 0x3f5db3d7, v21
	v_fmamk_f32 v21, v68, 0x3f5db3d7, v89
	v_fmamk_f32 v47, v62, 0x3f5db3d7, v87
	v_fmac_f32_e32 v87, 0xbf5db3d7, v62
	v_fmac_f32_e32 v89, 0xbf5db3d7, v68
	v_dual_fmac_f32 v83, 0x3f5db3d7, v40 :: v_dual_lshlrev_b32 v68, 2, v78
	v_fmamk_f32 v49, v11, 0xbf5db3d7, v81
	v_fmac_f32_e32 v81, 0x3f5db3d7, v11
	v_fmamk_f32 v11, v72, 0x3f5db3d7, v91
	v_fmac_f32_e32 v91, 0xbf5db3d7, v72
	ds_store_2addr_b32 v75, v10, v42 offset1:135
	ds_store_b32 v75, v88 offset:1080
	ds_store_2addr_b32 v8, v12, v45 offset1:135
	ds_store_b32 v8, v90 offset:1080
	;; [unrolled: 2-line block ×5, first 2 shown]
	global_wb scope:SCOPE_SE
	s_wait_dscnt 0x0
	s_barrier_signal -1
	s_barrier_wait -1
	global_inv scope:SCOPE_SE
	ds_load_2addr_b32 v[14:15], v23 offset0:7 offset1:250
	ds_load_2addr_b32 v[52:53], v31 offset0:11 offset1:254
	;; [unrolled: 1-line block ×3, first 2 shown]
	ds_load_b32 v70, v2
	ds_load_2addr_b32 v[56:57], v26 offset0:5 offset1:248
	ds_load_b32 v71, v22
	ds_load_b32 v72, v25
	ds_load_2addr_b32 v[58:59], v28 offset0:7 offset1:250
	ds_load_b32 v73, v0
	ds_load_b32 v84, v27
	global_wb scope:SCOPE_SE
	s_wait_dscnt 0x0
	s_barrier_signal -1
	s_barrier_wait -1
	global_inv scope:SCOPE_SE
	ds_store_2addr_b32 v75, v44, v43 offset1:135
	ds_store_b32 v75, v80 offset:1080
	ds_store_2addr_b32 v8, v13, v46 offset1:135
	ds_store_b32 v8, v82 offset:1080
	;; [unrolled: 2-line block ×5, first 2 shown]
	v_lshlrev_b32_e32 v8, 4, v78
	v_add_co_u32 v40, s0, s8, v64
	global_wb scope:SCOPE_SE
	s_wait_dscnt 0x0
	s_barrier_signal -1
	s_barrier_wait -1
	global_inv scope:SCOPE_SE
	s_clause 0x1
	global_load_b128 v[10:13], v[16:17], off offset:3200
	global_load_b128 v[44:47], v8, s[8:9] offset:3200
	s_wait_alu 0xf1ff
	v_add_co_ci_u32_e64 v41, s0, s9, v65, s0
	v_lshlrev_b32_e32 v8, 4, v3
	global_load_b128 v[18:21], v[60:61], off offset:3200
	ds_load_2addr_b32 v[60:61], v23 offset0:7 offset1:250
	global_load_b128 v[40:43], v[40:41], off offset:3200
	ds_load_2addr_b32 v[62:63], v31 offset0:11 offset1:254
	global_load_b128 v[48:51], v8, s[8:9] offset:3200
	v_cmp_lt_u32_e64 s0, 0xa1, v35
	ds_load_2addr_b32 v[64:65], v24 offset0:1 offset1:244
	v_lshlrev_b32_e32 v34, 2, v74
	ds_load_2addr_b32 v[66:67], v26 offset0:5 offset1:248
	v_lshl_add_u32 v74, v35, 2, 0
	s_wait_alu 0xf1ff
	v_cndmask_b32_e64 v8, 0, 0x12fc, s0
	s_delay_alu instid0(VALU_DEP_1)
	v_add3_u32 v8, 0, v8, v34
	s_wait_loadcnt_dscnt 0x403
	v_mul_f32_e32 v34, v60, v11
	s_wait_loadcnt_dscnt 0x300
	v_dual_mul_f32 v11, v14, v11 :: v_dual_mul_f32 v86, v67, v45
	v_mul_f32_e32 v45, v57, v45
	v_mul_f32_e32 v80, v63, v13
	v_fma_f32 v14, v14, v10, -v34
	s_wait_loadcnt 0x2
	v_mul_f32_e32 v81, v61, v19
	s_wait_loadcnt 0x1
	v_mul_f32_e32 v85, v65, v43
	s_wait_loadcnt 0x0
	v_dual_mul_f32 v43, v55, v43 :: v_dual_mul_f32 v34, v62, v49
	v_mul_f32_e32 v82, v64, v21
	v_mul_f32_e32 v21, v54, v21
	;; [unrolled: 1-line block ×4, first 2 shown]
	v_fma_f32 v34, v52, v48, -v34
	v_fmac_f32_e32 v43, v65, v42
	v_fmac_f32_e32 v21, v64, v20
	;; [unrolled: 1-line block ×4, first 2 shown]
	v_add_f32_e32 v65, v84, v34
	v_mul_f32_e32 v19, v15, v19
	v_fma_f32 v15, v15, v18, -v81
	v_fmac_f32_e32 v11, v60, v10
	v_fma_f32 v10, v53, v12, -v80
	s_delay_alu instid0(VALU_DEP_4)
	v_fmac_f32_e32 v19, v61, v18
	v_fma_f32 v18, v54, v20, -v82
	v_fma_f32 v20, v56, v40, -v83
	;; [unrolled: 1-line block ×4, first 2 shown]
	v_sub_f32_e32 v55, v19, v21
	s_delay_alu instid0(VALU_DEP_4) | instskip(NEXT) | instid1(VALU_DEP_3)
	v_dual_add_f32 v54, v15, v18 :: v_dual_add_f32 v57, v70, v20
	v_add_f32_e32 v61, v72, v42
	v_and_b32_e32 v1, 0xffff, v1
	s_delay_alu instid0(VALU_DEP_1) | instskip(NEXT) | instid1(VALU_DEP_1)
	v_mul_u32_u24_e32 v1, 0x12fc, v1
	v_add3_u32 v1, 0, v1, v68
	ds_load_b32 v75, v0
	ds_load_b32 v76, v2
	ds_load_2addr_b32 v[68:69], v28 offset0:7 offset1:250
	ds_load_b32 v77, v22
	ds_load_b32 v78, v25
	;; [unrolled: 1-line block ×3, first 2 shown]
	global_wb scope:SCOPE_SE
	s_wait_dscnt 0x0
	s_barrier_signal -1
	s_barrier_wait -1
	global_inv scope:SCOPE_SE
	v_add_f32_e32 v56, v75, v19
	v_add_f32_e32 v60, v76, v41
	;; [unrolled: 1-line block ×4, first 2 shown]
	v_mul_f32_e32 v13, v53, v13
	v_add_f32_e32 v53, v73, v15
	s_delay_alu instid0(VALU_DEP_4) | instskip(SKIP_3) | instid1(VALU_DEP_1)
	v_fmac_f32_e32 v75, -0.5, v19
	v_sub_f32_e32 v15, v15, v18
	v_fmac_f32_e32 v73, -0.5, v54
	v_dual_fmac_f32 v13, v63, v12 :: v_dual_mul_f32 v12, v58, v47
	v_fmac_f32_e32 v12, v68, v46
	s_delay_alu instid0(VALU_DEP_1)
	v_sub_f32_e32 v63, v45, v12
	v_mul_f32_e32 v87, v68, v47
	v_mul_f32_e32 v47, v52, v49
	;; [unrolled: 1-line block ×4, first 2 shown]
	v_add_f32_e32 v45, v45, v12
	v_fma_f32 v44, v58, v46, -v87
	v_fmac_f32_e32 v47, v62, v48
	v_fma_f32 v46, v59, v50, -v49
	v_fmac_f32_e32 v51, v69, v50
	v_add_f32_e32 v49, v14, v10
	v_sub_f32_e32 v59, v41, v43
	v_dual_add_f32 v41, v41, v43 :: v_dual_add_f32 v62, v42, v44
	v_sub_f32_e32 v42, v42, v44
	v_add_f32_e32 v68, v79, v47
	v_fmac_f32_e32 v78, -0.5, v45
	v_add_f32_e32 v48, v71, v14
	v_add_f32_e32 v58, v20, v40
	v_dual_sub_f32 v20, v20, v40 :: v_dual_sub_f32 v67, v47, v51
	v_add_f32_e32 v47, v47, v51
	v_fmac_f32_e32 v71, -0.5, v49
	v_fmac_f32_e32 v76, -0.5, v41
	v_dual_fmac_f32 v72, -0.5, v62 :: v_dual_add_f32 v45, v68, v51
	v_fmamk_f32 v51, v42, 0xbf5db3d7, v78
	v_fmac_f32_e32 v78, 0x3f5db3d7, v42
	v_sub_f32_e32 v50, v11, v13
	v_add_f32_e32 v66, v34, v46
	v_sub_f32_e32 v14, v14, v10
	v_fmac_f32_e32 v70, -0.5, v58
	v_sub_f32_e32 v34, v34, v46
	v_fmamk_f32 v19, v50, 0x3f5db3d7, v71
	v_dual_fmac_f32 v71, 0xbf5db3d7, v50 :: v_dual_fmamk_f32 v50, v20, 0xbf5db3d7, v76
	v_fmac_f32_e32 v76, 0x3f5db3d7, v20
	v_fmamk_f32 v20, v63, 0x3f5db3d7, v72
	v_fmac_f32_e32 v72, 0xbf5db3d7, v63
	v_dual_add_f32 v52, v77, v11 :: v_dual_add_f32 v11, v11, v13
	v_fmac_f32_e32 v84, -0.5, v66
	v_dual_add_f32 v10, v48, v10 :: v_dual_fmac_f32 v79, -0.5, v47
	s_delay_alu instid0(VALU_DEP_3)
	v_dual_add_f32 v48, v52, v13 :: v_dual_fmac_f32 v77, -0.5, v11
	v_add_f32_e32 v11, v53, v18
	v_add_f32_e32 v49, v56, v21
	;; [unrolled: 1-line block ×6, first 2 shown]
	v_fmamk_f32 v46, v14, 0xbf5db3d7, v77
	v_fmac_f32_e32 v77, 0x3f5db3d7, v14
	v_fmamk_f32 v14, v55, 0x3f5db3d7, v73
	v_fmamk_f32 v47, v15, 0xbf5db3d7, v75
	v_fmac_f32_e32 v75, 0x3f5db3d7, v15
	v_fmamk_f32 v15, v59, 0x3f5db3d7, v70
	v_fmamk_f32 v21, v67, 0x3f5db3d7, v84
	v_fmac_f32_e32 v84, 0xbf5db3d7, v67
	v_lshl_add_u32 v3, v3, 2, 0
	v_add_f32_e32 v52, v60, v43
	v_fmac_f32_e32 v73, 0xbf5db3d7, v55
	v_dual_fmac_f32 v70, 0xbf5db3d7, v59 :: v_dual_fmamk_f32 v53, v34, 0xbf5db3d7, v79
	v_fmac_f32_e32 v79, 0x3f5db3d7, v34
	ds_store_b32 v22, v10
	ds_store_b32 v22, v19 offset:1620
	ds_store_b32 v22, v71 offset:3240
	ds_store_b32 v8, v11
	ds_store_b32 v8, v14 offset:1620
	ds_store_b32 v8, v73 offset:3240
	;; [unrolled: 1-line block ×5, first 2 shown]
	ds_store_b32 v1, v18
	ds_store_b32 v1, v20 offset:1620
	ds_store_b32 v1, v72 offset:3240
	;; [unrolled: 1-line block ×5, first 2 shown]
	global_wb scope:SCOPE_SE
	s_wait_dscnt 0x0
	s_barrier_signal -1
	s_barrier_wait -1
	global_inv scope:SCOPE_SE
	ds_load_2addr_b32 v[10:11], v23 offset0:7 offset1:250
	ds_load_2addr_b32 v[20:21], v31 offset0:11 offset1:254
	ds_load_2addr_b32 v[12:13], v24 offset0:1 offset1:244
	ds_load_b32 v40, v2
	ds_load_2addr_b32 v[14:15], v26 offset0:5 offset1:248
	ds_load_b32 v42, v22
	ds_load_b32 v41, v25
	ds_load_2addr_b32 v[18:19], v28 offset0:7 offset1:250
	ds_load_b32 v34, v0
	ds_load_b32 v43, v27
	global_wb scope:SCOPE_SE
	s_wait_dscnt 0x0
	s_barrier_signal -1
	s_barrier_wait -1
	global_inv scope:SCOPE_SE
	ds_store_b32 v22, v48
	ds_store_b32 v22, v46 offset:1620
	ds_store_b32 v22, v77 offset:3240
	ds_store_b32 v8, v49
	ds_store_b32 v8, v47 offset:1620
	ds_store_b32 v8, v75 offset:3240
	;; [unrolled: 1-line block ×5, first 2 shown]
	ds_store_b32 v1, v44
	ds_store_b32 v1, v51 offset:1620
	ds_store_b32 v1, v78 offset:3240
	;; [unrolled: 1-line block ×5, first 2 shown]
	global_wb scope:SCOPE_SE
	s_wait_dscnt 0x0
	s_barrier_signal -1
	s_barrier_wait -1
	global_inv scope:SCOPE_SE
	s_and_saveexec_b32 s0, vcc_lo
	s_cbranch_execz .LBB0_15
; %bb.14:
	v_lshlrev_b32_e32 v8, 1, v39
	v_add_nc_u32_e32 v56, 0xf3, v35
	v_add_nc_u32_e32 v58, 0x2d9, v35
	;; [unrolled: 1-line block ×4, first 2 shown]
	v_lshlrev_b64_e32 v[0:1], 3, v[8:9]
	v_lshlrev_b32_e32 v8, 1, v37
	v_mul_hi_u32 v60, 0x1af83441, v56
	v_mul_hi_u32 v62, 0x1af83441, v58
	;; [unrolled: 1-line block ×3, first 2 shown]
	v_lshlrev_b64_e32 v[4:5], 3, v[4:5]
	v_add_co_u32 v0, vcc_lo, s8, v0
	v_lshlrev_b64_e32 v[48:49], 3, v[8:9]
	s_wait_alu 0xfffd
	v_add_co_ci_u32_e32 v1, vcc_lo, s9, v1, vcc_lo
	v_lshlrev_b32_e32 v8, 1, v38
	s_clause 0x1
	global_load_b128 v[0:3], v[0:1], off offset:9680
	global_load_b128 v[44:47], v[16:17], off offset:9680
	v_add_co_u32 v16, vcc_lo, s8, v48
	s_wait_alu 0xfffd
	v_add_co_ci_u32_e32 v17, vcc_lo, s9, v49, vcc_lo
	global_load_b128 v[48:51], v[16:17], off offset:9680
	v_lshlrev_b64_e32 v[16:17], 3, v[8:9]
	v_lshlrev_b32_e32 v8, 1, v36
	s_delay_alu instid0(VALU_DEP_1) | instskip(NEXT) | instid1(VALU_DEP_3)
	v_lshlrev_b64_e32 v[8:9], 3, v[8:9]
	v_add_co_u32 v16, vcc_lo, s8, v16
	s_wait_alu 0xfffd
	s_delay_alu instid0(VALU_DEP_4) | instskip(NEXT) | instid1(VALU_DEP_3)
	v_add_co_ci_u32_e32 v17, vcc_lo, s9, v17, vcc_lo
	v_add_co_u32 v8, vcc_lo, s8, v8
	s_wait_alu 0xfffd
	v_add_co_ci_u32_e32 v9, vcc_lo, s9, v9, vcc_lo
	s_clause 0x1
	global_load_b128 v[52:55], v[16:17], off offset:9680
	global_load_b128 v[36:39], v[8:9], off offset:9680
	ds_load_2addr_b32 v[8:9], v31 offset0:11 offset1:254
	v_mul_hi_u32 v31, 0x1af83441, v35
	v_sub_nc_u32_e32 v16, 0, v33
	v_sub_nc_u32_e32 v17, 0, v32
	v_mul_lo_u32 v32, s3, v6
	v_mul_lo_u32 v33, s2, v7
	v_mad_co_u64_u32 v[6:7], null, s2, v6, 0
	v_add_nc_u32_e32 v92, v29, v16
	v_lshrrev_b32_e32 v31, 7, v31
	v_lshrrev_b32_e32 v29, 7, v60
	v_add_nc_u32_e32 v91, v30, v17
	v_lshrrev_b32_e32 v30, 7, v61
	s_delay_alu instid0(VALU_DEP_4) | instskip(SKIP_2) | instid1(VALU_DEP_4)
	v_mul_u32_u24_e32 v16, 0x4bf, v31
	v_lshrrev_b32_e32 v31, 7, v62
	v_add3_u32 v7, v7, v33, v32
	v_mul_u32_u24_e32 v17, 0x4bf, v30
	s_delay_alu instid0(VALU_DEP_4)
	v_sub_nc_u32_e32 v33, v35, v16
	v_mul_u32_u24_e32 v16, 0x4bf, v29
	v_mul_u32_u24_e32 v35, 0x4bf, v31
	v_lshlrev_b64_e32 v[6:7], 3, v[6:7]
	v_sub_nc_u32_e32 v57, v57, v17
	v_add_nc_u32_e32 v69, 0x4bf, v33
	v_sub_nc_u32_e32 v56, v56, v16
	v_sub_nc_u32_e32 v35, v58, v35
	v_add_nc_u32_e32 v71, 0x97e, v33
	v_add_co_u32 v61, vcc_lo, s6, v6
	s_wait_alu 0xfffd
	v_add_co_ci_u32_e32 v62, vcc_lo, s7, v7, vcc_lo
	v_mad_u32_u24 v72, 0xe3d, v29, v56
	v_mad_u32_u24 v35, 0xe3d, v31, v35
	v_add_co_u32 v93, vcc_lo, v61, v4
	v_mad_co_u64_u32 v[6:7], null, s16, v33, 0
	s_wait_alu 0xfffd
	v_add_co_ci_u32_e32 v94, vcc_lo, v62, v5, vcc_lo
	v_mad_co_u64_u32 v[4:5], null, s16, v69, 0
	v_mad_u32_u24 v73, 0xe3d, v30, v57
	v_mad_co_u64_u32 v[29:30], null, s16, v72, 0
	v_mad_co_u64_u32 v[56:57], null, s16, v35, 0
	v_mad_co_u64_u32 v[16:17], null, s16, v71, 0
	v_mad_co_u64_u32 v[69:70], null, s17, v69, v[5:6]
	s_delay_alu instid0(VALU_DEP_4) | instskip(NEXT) | instid1(VALU_DEP_4)
	v_mov_b32_e32 v5, v30
	v_dual_mov_b32 v30, v57 :: v_dual_add_nc_u32 v77, 0x4bf, v73
	v_mul_hi_u32 v32, 0x1af83441, v59
	v_add_nc_u32_e32 v82, 0x4bf, v35
	v_add_nc_u32_e32 v85, 0x97e, v35
	s_delay_alu instid0(VALU_DEP_4) | instskip(SKIP_2) | instid1(VALU_DEP_3)
	v_mad_co_u64_u32 v[65:66], null, s16, v77, 0
	v_add_nc_u32_e32 v76, 0x97e, v72
	v_lshrrev_b32_e32 v32, 7, v32
	v_mov_b32_e32 v57, v66
	s_delay_alu instid0(VALU_DEP_3) | instskip(NEXT) | instid1(VALU_DEP_3)
	v_mad_co_u64_u32 v[63:64], null, s16, v76, 0
	v_mul_u32_u24_e32 v60, 0x4bf, v32
	s_delay_alu instid0(VALU_DEP_1) | instskip(SKIP_3) | instid1(VALU_DEP_3)
	v_sub_nc_u32_e32 v58, v59, v60
	s_wait_dscnt 0x0
	v_mad_co_u64_u32 v[60:61], null, s17, v33, v[7:8]
	v_mov_b32_e32 v7, v17
	v_mad_u32_u24 v75, 0xe3d, v32, v58
	v_mad_co_u64_u32 v[31:32], null, s16, v73, 0
	s_delay_alu instid0(VALU_DEP_3) | instskip(NEXT) | instid1(VALU_DEP_3)
	v_mad_co_u64_u32 v[70:71], null, s17, v71, v[7:8]
	v_mad_co_u64_u32 v[58:59], null, s16, v75, 0
	v_dual_mov_b32 v7, v60 :: v_dual_add_nc_u32 v74, 0x4bf, v72
	s_delay_alu instid0(VALU_DEP_4) | instskip(SKIP_3) | instid1(VALU_DEP_4)
	v_mov_b32_e32 v17, v32
	v_mad_co_u64_u32 v[32:33], null, s17, v72, v[5:6]
	v_mad_co_u64_u32 v[71:72], null, s17, v35, v[30:31]
	v_mov_b32_e32 v33, v59
	v_mad_co_u64_u32 v[59:60], null, s17, v73, v[17:18]
	v_mov_b32_e32 v17, v70
	;; [unrolled: 2-line block ×3, first 2 shown]
	v_dual_mov_b32 v35, v64 :: v_dual_add_nc_u32 v78, 0x97e, v73
	v_add_nc_u32_e32 v87, 0x4bf, v75
	v_lshlrev_b64_e32 v[6:7], 3, v[6:7]
	s_delay_alu instid0(VALU_DEP_4) | instskip(SKIP_4) | instid1(VALU_DEP_4)
	v_lshlrev_b64_e32 v[4:5], 3, v[4:5]
	v_mov_b32_e32 v30, v62
	v_lshlrev_b64_e32 v[16:17], 3, v[16:17]
	v_mad_co_u64_u32 v[80:81], null, s16, v87, 0
	v_add_co_u32 v6, vcc_lo, v93, v6
	v_mad_co_u64_u32 v[69:70], null, s17, v74, v[30:31]
	s_wait_alu 0xfffd
	v_add_co_ci_u32_e32 v7, vcc_lo, v94, v7, vcc_lo
	v_add_co_u32 v4, vcc_lo, v93, v4
	s_wait_alu 0xfffd
	v_add_co_ci_u32_e32 v5, vcc_lo, v94, v5, vcc_lo
	s_delay_alu instid0(VALU_DEP_4)
	v_mov_b32_e32 v62, v69
	v_add_co_u32 v16, vcc_lo, v93, v16
	s_wait_alu 0xfffd
	v_add_co_ci_u32_e32 v17, vcc_lo, v94, v17, vcc_lo
	s_wait_loadcnt 0x0
	v_mad_co_u64_u32 v[72:73], null, s17, v76, v[35:36]
	v_mad_co_u64_u32 v[73:74], null, s17, v75, v[33:34]
	v_add_nc_u32_e32 v60, 0x97e, v75
	v_mad_co_u64_u32 v[74:75], null, s17, v77, v[57:58]
	v_mov_b32_e32 v57, v71
	v_mad_co_u64_u32 v[67:68], null, s16, v78, 0
	v_mov_b32_e32 v64, v72
	s_delay_alu instid0(VALU_DEP_4) | instskip(NEXT) | instid1(VALU_DEP_3)
	v_mov_b32_e32 v66, v74
	v_mov_b32_e32 v30, v68
	s_delay_alu instid0(VALU_DEP_1)
	v_mad_co_u64_u32 v[75:76], null, s17, v78, v[30:31]
	v_mad_co_u64_u32 v[76:77], null, s16, v82, 0
	;; [unrolled: 1-line block ×3, first 2 shown]
	v_mov_b32_e32 v30, v32
	v_dual_mov_b32 v32, v59 :: v_dual_mov_b32 v59, v73
	v_mad_co_u64_u32 v[70:71], null, s16, v60, 0
	v_mov_b32_e32 v33, v77
	v_mov_b32_e32 v35, v79
	s_delay_alu instid0(VALU_DEP_2)
	v_mad_co_u64_u32 v[82:83], null, s17, v82, v[33:34]
	ds_load_2addr_b32 v[83:84], v28 offset0:7 offset1:250
	v_mov_b32_e32 v28, v81
	v_mad_co_u64_u32 v[72:73], null, s17, v85, v[35:36]
	ds_load_2addr_b32 v[85:86], v26 offset0:5 offset1:248
	v_dual_mov_b32 v26, v71 :: v_dual_mov_b32 v77, v82
	v_mad_co_u64_u32 v[73:74], null, s17, v87, v[28:29]
	ds_load_2addr_b32 v[87:88], v24 offset0:1 offset1:244
	v_mad_co_u64_u32 v[89:90], null, s17, v60, v[26:27]
	ds_load_2addr_b32 v[23:24], v23 offset0:7 offset1:250
	ds_load_b32 v33, v27
	ds_load_b32 v35, v25
	;; [unrolled: 1-line block ×5, first 2 shown]
	v_dual_mov_b32 v68, v75 :: v_dual_mov_b32 v79, v72
	v_mul_f32_e32 v72, v1, v8
	v_lshlrev_b64_e32 v[25:26], 3, v[29:30]
	v_lshlrev_b64_e32 v[27:28], 3, v[31:32]
	;; [unrolled: 1-line block ×4, first 2 shown]
	v_dual_mov_b32 v81, v73 :: v_dual_mul_f32 v8, v0, v8
	v_lshlrev_b64_e32 v[56:57], 3, v[61:62]
	v_lshlrev_b64_e32 v[58:59], 3, v[63:64]
	;; [unrolled: 1-line block ×4, first 2 shown]
	s_wait_dscnt 0x5
	v_dual_mul_f32 v73, v3, v84 :: v_dual_mul_f32 v76, v45, v23
	v_dual_mul_f32 v75, v2, v84 :: v_dual_fmac_f32 v8, v20, v1
	v_mul_f32_e32 v77, v47, v9
	v_fma_f32 v0, v20, v0, -v72
	v_mul_f32_e32 v23, v44, v23
	v_mov_b32_e32 v71, v89
	v_lshlrev_b64_e32 v[62:63], 3, v[67:68]
	v_lshlrev_b64_e32 v[66:67], 3, v[78:79]
	v_mul_f32_e32 v78, v46, v9
	v_fma_f32 v2, v19, v2, -v73
	v_fmac_f32_e32 v75, v19, v3
	v_dual_mul_f32 v1, v49, v86 :: v_dual_mul_f32 v20, v50, v83
	v_mul_f32_e32 v3, v51, v83
	v_dual_mul_f32 v9, v48, v86 :: v_dual_fmac_f32 v78, v21, v47
	v_fmac_f32_e32 v23, v10, v45
	v_fma_f32 v19, v10, v44, -v76
	v_fma_f32 v44, v21, v46, -v77
	v_sub_f32_e32 v10, v0, v2
	v_add_f32_e32 v21, v8, v75
	s_wait_dscnt 0x4
	v_dual_add_f32 v45, v8, v33 :: v_dual_fmac_f32 v20, v18, v51
	v_add_f32_e32 v46, v0, v2
	v_fma_f32 v48, v15, v48, -v1
	v_fma_f32 v50, v18, v50, -v3
	v_dual_mul_f32 v18, v55, v88 :: v_dual_sub_f32 v47, v8, v75
	s_wait_dscnt 0x2
	v_add_f32_e32 v76, v23, v22
	v_add_f32_e32 v8, v43, v0
	v_fmac_f32_e32 v9, v15, v49
	v_mul_f32_e32 v15, v53, v85
	v_dual_mul_f32 v49, v52, v85 :: v_dual_sub_f32 v72, v19, v44
	v_add_f32_e32 v77, v19, v44
	v_sub_f32_e32 v79, v23, v78
	v_fma_f32 v1, -0.5, v21, v33
	v_fma_f32 v0, -0.5, v46, v43
	v_mul_f32_e32 v51, v54, v88
	v_add_f32_e32 v46, v41, v48
	v_fma_f32 v15, v14, v52, -v15
	v_fmac_f32_e32 v49, v14, v53
	v_dual_sub_f32 v33, v48, v50 :: v_dual_add_f32 v14, v78, v76
	v_add_f32_e32 v43, v48, v50
	v_fma_f32 v48, v13, v54, -v18
	v_mul_f32_e32 v54, v38, v87
	v_add_co_u32 v25, vcc_lo, v93, v25
	s_wait_alu 0xfffd
	v_add_co_ci_u32_e32 v26, vcc_lo, v94, v26, vcc_lo
	v_add_co_u32 v27, vcc_lo, v93, v27
	v_dual_add_f32 v73, v23, v78 :: v_dual_mul_f32 v52, v37, v24
	v_add_f32_e32 v2, v8, v2
	v_dual_mul_f32 v24, v36, v24 :: v_dual_add_f32 v23, v9, v35
	v_fma_f32 v8, -0.5, v77, v42
	v_fmac_f32_e32 v54, v12, v39
	s_wait_dscnt 0x1
	v_dual_add_f32 v19, v42, v19 :: v_dual_add_f32 v42, v49, v74
	s_wait_alu 0xfffd
	v_add_co_ci_u32_e32 v28, vcc_lo, v94, v28, vcc_lo
	v_add_co_u32 v29, vcc_lo, v93, v29
	s_wait_alu 0xfffd
	v_add_co_ci_u32_e32 v30, vcc_lo, v94, v30, vcc_lo
	v_add_co_u32 v31, vcc_lo, v93, v31
	v_add_f32_e32 v3, v75, v45
	v_add_f32_e32 v21, v9, v20
	v_sub_f32_e32 v45, v9, v20
	v_fma_f32 v9, -0.5, v73, v22
	v_fmamk_f32 v18, v47, 0xbf5db3d7, v0
	v_add_f32_e32 v22, v46, v50
	v_add_f32_e32 v46, v40, v15
	v_fmac_f32_e32 v51, v13, v55
	v_add_f32_e32 v13, v19, v44
	v_fma_f32 v36, v11, v36, -v52
	v_fmamk_f32 v19, v10, 0x3f5db3d7, v1
	v_dual_fmac_f32 v1, 0xbf5db3d7, v10 :: v_dual_fmac_f32 v24, v11, v37
	v_dual_add_f32 v23, v20, v23 :: v_dual_fmamk_f32 v10, v79, 0xbf5db3d7, v8
	v_fma_f32 v20, -0.5, v43, v41
	v_mul_f32_e32 v53, v39, v87
	s_wait_alu 0xfffd
	v_add_co_ci_u32_e32 v32, vcc_lo, v94, v32, vcc_lo
	v_add_co_u32 v56, vcc_lo, v93, v56
	s_wait_alu 0xfffd
	v_add_co_ci_u32_e32 v57, vcc_lo, v94, v57, vcc_lo
	v_fma_f32 v21, -0.5, v21, v35
	v_dual_sub_f32 v35, v15, v48 :: v_dual_fmac_f32 v8, 0x3f5db3d7, v79
	global_store_b64 v[6:7], v[13:14], off
	v_fmamk_f32 v6, v45, 0xbf5db3d7, v20
	v_fma_f32 v38, v12, v38, -v53
	v_add_f32_e32 v37, v24, v54
	s_wait_dscnt 0x0
	v_add_f32_e32 v39, v24, v90
	v_dual_sub_f32 v24, v24, v54 :: v_dual_add_f32 v43, v15, v48
	v_add_co_u32 v58, vcc_lo, v93, v58
	s_wait_alu 0xfffd
	v_add_co_ci_u32_e32 v59, vcc_lo, v94, v59, vcc_lo
	v_add_co_u32 v60, vcc_lo, v93, v60
	v_dual_fmamk_f32 v11, v72, 0x3f5db3d7, v9 :: v_dual_fmac_f32 v20, 0x3f5db3d7, v45
	v_sub_f32_e32 v44, v49, v51
	v_fma_f32 v12, -0.5, v43, v40
	v_dual_fmac_f32 v9, 0xbf5db3d7, v72 :: v_dual_add_f32 v40, v36, v38
	s_wait_alu 0xfffd
	v_add_co_ci_u32_e32 v61, vcc_lo, v94, v61, vcc_lo
	v_add_co_u32 v62, vcc_lo, v93, v62
	v_fmamk_f32 v7, v33, 0x3f5db3d7, v21
	v_fmac_f32_e32 v21, 0xbf5db3d7, v33
	v_dual_sub_f32 v33, v36, v38 :: v_dual_add_f32 v36, v34, v36
	v_add_f32_e32 v41, v49, v51
	s_wait_alu 0xfffd
	v_add_co_ci_u32_e32 v63, vcc_lo, v94, v63, vcc_lo
	v_lshlrev_b64_e32 v[68:69], 3, v[80:81]
	v_add_co_u32 v64, vcc_lo, v93, v64
	s_clause 0x1
	global_store_b64 v[4:5], v[8:9], off
	global_store_b64 v[16:17], v[10:11], off
	v_add_f32_e32 v10, v36, v38
	v_fma_f32 v5, -0.5, v37, v90
	v_fma_f32 v4, -0.5, v40, v34
	s_wait_alu 0xfffd
	v_add_co_ci_u32_e32 v65, vcc_lo, v94, v65, vcc_lo
	v_lshlrev_b64_e32 v[70:71], 3, v[70:71]
	v_add_co_u32 v66, vcc_lo, v93, v66
	v_fma_f32 v13, -0.5, v41, v74
	v_add_f32_e32 v11, v54, v39
	s_wait_alu 0xfffd
	v_add_co_ci_u32_e32 v67, vcc_lo, v94, v67, vcc_lo
	v_fmamk_f32 v17, v33, 0x3f5db3d7, v5
	v_dual_fmac_f32 v5, 0xbf5db3d7, v33 :: v_dual_fmamk_f32 v16, v24, 0xbf5db3d7, v4
	v_fmac_f32_e32 v4, 0x3f5db3d7, v24
	v_add_co_u32 v68, vcc_lo, v93, v68
	v_dual_add_f32 v15, v51, v42 :: v_dual_add_f32 v14, v46, v48
	s_wait_alu 0xfffd
	v_add_co_ci_u32_e32 v69, vcc_lo, v94, v69, vcc_lo
	v_fmamk_f32 v9, v35, 0x3f5db3d7, v13
	v_dual_fmac_f32 v13, 0xbf5db3d7, v35 :: v_dual_fmamk_f32 v8, v44, 0xbf5db3d7, v12
	v_fmac_f32_e32 v12, 0x3f5db3d7, v44
	s_clause 0x6
	global_store_b64 v[25:26], v[10:11], off
	global_store_b64 v[56:57], v[4:5], off
	;; [unrolled: 1-line block ×7, first 2 shown]
	v_add_co_u32 v4, vcc_lo, v93, v70
	v_fmac_f32_e32 v0, 0x3f5db3d7, v47
	s_wait_alu 0xfffd
	v_add_co_ci_u32_e32 v5, vcc_lo, v94, v71, vcc_lo
	s_clause 0x4
	global_store_b64 v[64:65], v[20:21], off
	global_store_b64 v[66:67], v[6:7], off
	;; [unrolled: 1-line block ×5, first 2 shown]
.LBB0_15:
	s_nop 0
	s_sendmsg sendmsg(MSG_DEALLOC_VGPRS)
	s_endpgm
	.section	.rodata,"a",@progbits
	.p2align	6, 0x0
	.amdhsa_kernel fft_rtc_fwd_len3645_factors_5_3_3_3_3_3_3_wgs_243_tpt_243_halfLds_sp_op_CI_CI_sbrr_dirReg
		.amdhsa_group_segment_fixed_size 0
		.amdhsa_private_segment_fixed_size 0
		.amdhsa_kernarg_size 104
		.amdhsa_user_sgpr_count 2
		.amdhsa_user_sgpr_dispatch_ptr 0
		.amdhsa_user_sgpr_queue_ptr 0
		.amdhsa_user_sgpr_kernarg_segment_ptr 1
		.amdhsa_user_sgpr_dispatch_id 0
		.amdhsa_user_sgpr_private_segment_size 0
		.amdhsa_wavefront_size32 1
		.amdhsa_uses_dynamic_stack 0
		.amdhsa_enable_private_segment 0
		.amdhsa_system_sgpr_workgroup_id_x 1
		.amdhsa_system_sgpr_workgroup_id_y 0
		.amdhsa_system_sgpr_workgroup_id_z 0
		.amdhsa_system_sgpr_workgroup_info 0
		.amdhsa_system_vgpr_workitem_id 0
		.amdhsa_next_free_vgpr 95
		.amdhsa_next_free_sgpr 43
		.amdhsa_reserve_vcc 1
		.amdhsa_float_round_mode_32 0
		.amdhsa_float_round_mode_16_64 0
		.amdhsa_float_denorm_mode_32 3
		.amdhsa_float_denorm_mode_16_64 3
		.amdhsa_fp16_overflow 0
		.amdhsa_workgroup_processor_mode 1
		.amdhsa_memory_ordered 1
		.amdhsa_forward_progress 0
		.amdhsa_round_robin_scheduling 0
		.amdhsa_exception_fp_ieee_invalid_op 0
		.amdhsa_exception_fp_denorm_src 0
		.amdhsa_exception_fp_ieee_div_zero 0
		.amdhsa_exception_fp_ieee_overflow 0
		.amdhsa_exception_fp_ieee_underflow 0
		.amdhsa_exception_fp_ieee_inexact 0
		.amdhsa_exception_int_div_zero 0
	.end_amdhsa_kernel
	.text
.Lfunc_end0:
	.size	fft_rtc_fwd_len3645_factors_5_3_3_3_3_3_3_wgs_243_tpt_243_halfLds_sp_op_CI_CI_sbrr_dirReg, .Lfunc_end0-fft_rtc_fwd_len3645_factors_5_3_3_3_3_3_3_wgs_243_tpt_243_halfLds_sp_op_CI_CI_sbrr_dirReg
                                        ; -- End function
	.section	.AMDGPU.csdata,"",@progbits
; Kernel info:
; codeLenInByte = 13784
; NumSgprs: 45
; NumVgprs: 95
; ScratchSize: 0
; MemoryBound: 0
; FloatMode: 240
; IeeeMode: 1
; LDSByteSize: 0 bytes/workgroup (compile time only)
; SGPRBlocks: 5
; VGPRBlocks: 11
; NumSGPRsForWavesPerEU: 45
; NumVGPRsForWavesPerEU: 95
; Occupancy: 16
; WaveLimiterHint : 1
; COMPUTE_PGM_RSRC2:SCRATCH_EN: 0
; COMPUTE_PGM_RSRC2:USER_SGPR: 2
; COMPUTE_PGM_RSRC2:TRAP_HANDLER: 0
; COMPUTE_PGM_RSRC2:TGID_X_EN: 1
; COMPUTE_PGM_RSRC2:TGID_Y_EN: 0
; COMPUTE_PGM_RSRC2:TGID_Z_EN: 0
; COMPUTE_PGM_RSRC2:TIDIG_COMP_CNT: 0
	.text
	.p2alignl 7, 3214868480
	.fill 96, 4, 3214868480
	.type	__hip_cuid_573fe617952880db,@object ; @__hip_cuid_573fe617952880db
	.section	.bss,"aw",@nobits
	.globl	__hip_cuid_573fe617952880db
__hip_cuid_573fe617952880db:
	.byte	0                               ; 0x0
	.size	__hip_cuid_573fe617952880db, 1

	.ident	"AMD clang version 19.0.0git (https://github.com/RadeonOpenCompute/llvm-project roc-6.4.0 25133 c7fe45cf4b819c5991fe208aaa96edf142730f1d)"
	.section	".note.GNU-stack","",@progbits
	.addrsig
	.addrsig_sym __hip_cuid_573fe617952880db
	.amdgpu_metadata
---
amdhsa.kernels:
  - .args:
      - .actual_access:  read_only
        .address_space:  global
        .offset:         0
        .size:           8
        .value_kind:     global_buffer
      - .offset:         8
        .size:           8
        .value_kind:     by_value
      - .actual_access:  read_only
        .address_space:  global
        .offset:         16
        .size:           8
        .value_kind:     global_buffer
      - .actual_access:  read_only
        .address_space:  global
        .offset:         24
        .size:           8
        .value_kind:     global_buffer
      - .actual_access:  read_only
        .address_space:  global
        .offset:         32
        .size:           8
        .value_kind:     global_buffer
      - .offset:         40
        .size:           8
        .value_kind:     by_value
      - .actual_access:  read_only
        .address_space:  global
        .offset:         48
        .size:           8
        .value_kind:     global_buffer
      - .actual_access:  read_only
        .address_space:  global
        .offset:         56
        .size:           8
        .value_kind:     global_buffer
      - .offset:         64
        .size:           4
        .value_kind:     by_value
      - .actual_access:  read_only
        .address_space:  global
        .offset:         72
        .size:           8
        .value_kind:     global_buffer
      - .actual_access:  read_only
        .address_space:  global
        .offset:         80
        .size:           8
        .value_kind:     global_buffer
      - .actual_access:  read_only
        .address_space:  global
        .offset:         88
        .size:           8
        .value_kind:     global_buffer
      - .actual_access:  write_only
        .address_space:  global
        .offset:         96
        .size:           8
        .value_kind:     global_buffer
    .group_segment_fixed_size: 0
    .kernarg_segment_align: 8
    .kernarg_segment_size: 104
    .language:       OpenCL C
    .language_version:
      - 2
      - 0
    .max_flat_workgroup_size: 243
    .name:           fft_rtc_fwd_len3645_factors_5_3_3_3_3_3_3_wgs_243_tpt_243_halfLds_sp_op_CI_CI_sbrr_dirReg
    .private_segment_fixed_size: 0
    .sgpr_count:     45
    .sgpr_spill_count: 0
    .symbol:         fft_rtc_fwd_len3645_factors_5_3_3_3_3_3_3_wgs_243_tpt_243_halfLds_sp_op_CI_CI_sbrr_dirReg.kd
    .uniform_work_group_size: 1
    .uses_dynamic_stack: false
    .vgpr_count:     95
    .vgpr_spill_count: 0
    .wavefront_size: 32
    .workgroup_processor_mode: 1
amdhsa.target:   amdgcn-amd-amdhsa--gfx1201
amdhsa.version:
  - 1
  - 2
...

	.end_amdgpu_metadata
